;; amdgpu-corpus repo=ROCm/rocFFT kind=compiled arch=gfx1030 opt=O3
	.text
	.amdgcn_target "amdgcn-amd-amdhsa--gfx1030"
	.amdhsa_code_object_version 6
	.protected	fft_rtc_back_len1428_factors_17_2_7_6_wgs_119_tpt_119_halfLds_sp_op_CI_CI_unitstride_sbrr_R2C_dirReg ; -- Begin function fft_rtc_back_len1428_factors_17_2_7_6_wgs_119_tpt_119_halfLds_sp_op_CI_CI_unitstride_sbrr_R2C_dirReg
	.globl	fft_rtc_back_len1428_factors_17_2_7_6_wgs_119_tpt_119_halfLds_sp_op_CI_CI_unitstride_sbrr_R2C_dirReg
	.p2align	8
	.type	fft_rtc_back_len1428_factors_17_2_7_6_wgs_119_tpt_119_halfLds_sp_op_CI_CI_unitstride_sbrr_R2C_dirReg,@function
fft_rtc_back_len1428_factors_17_2_7_6_wgs_119_tpt_119_halfLds_sp_op_CI_CI_unitstride_sbrr_R2C_dirReg: ; @fft_rtc_back_len1428_factors_17_2_7_6_wgs_119_tpt_119_halfLds_sp_op_CI_CI_unitstride_sbrr_R2C_dirReg
; %bb.0:
	s_clause 0x2
	s_load_dwordx4 s[12:15], s[4:5], 0x0
	s_load_dwordx4 s[8:11], s[4:5], 0x58
	;; [unrolled: 1-line block ×3, first 2 shown]
	v_mul_u32_u24_e32 v1, 0x227, v0
	v_mov_b32_e32 v3, 0
	v_add_nc_u32_sdwa v5, s6, v1 dst_sel:DWORD dst_unused:UNUSED_PAD src0_sel:DWORD src1_sel:WORD_1
	v_mov_b32_e32 v1, 0
	v_mov_b32_e32 v6, v3
	v_mov_b32_e32 v2, 0
	s_waitcnt lgkmcnt(0)
	v_cmp_lt_u64_e64 s0, s[14:15], 2
	s_and_b32 vcc_lo, exec_lo, s0
	s_cbranch_vccnz .LBB0_8
; %bb.1:
	s_load_dwordx2 s[0:1], s[4:5], 0x10
	v_mov_b32_e32 v1, 0
	v_mov_b32_e32 v2, 0
	s_add_u32 s2, s18, 8
	s_addc_u32 s3, s19, 0
	s_add_u32 s6, s16, 8
	s_addc_u32 s7, s17, 0
	v_mov_b32_e32 v37, v2
	v_mov_b32_e32 v36, v1
	s_mov_b64 s[22:23], 1
	s_waitcnt lgkmcnt(0)
	s_add_u32 s20, s0, 8
	s_addc_u32 s21, s1, 0
.LBB0_2:                                ; =>This Inner Loop Header: Depth=1
	s_load_dwordx2 s[24:25], s[20:21], 0x0
                                        ; implicit-def: $vgpr40_vgpr41
	s_mov_b32 s0, exec_lo
	s_waitcnt lgkmcnt(0)
	v_or_b32_e32 v4, s25, v6
	v_cmpx_ne_u64_e32 0, v[3:4]
	s_xor_b32 s1, exec_lo, s0
	s_cbranch_execz .LBB0_4
; %bb.3:                                ;   in Loop: Header=BB0_2 Depth=1
	v_cvt_f32_u32_e32 v4, s24
	v_cvt_f32_u32_e32 v7, s25
	s_sub_u32 s0, 0, s24
	s_subb_u32 s26, 0, s25
	v_fmac_f32_e32 v4, 0x4f800000, v7
	v_rcp_f32_e32 v4, v4
	v_mul_f32_e32 v4, 0x5f7ffffc, v4
	v_mul_f32_e32 v7, 0x2f800000, v4
	v_trunc_f32_e32 v7, v7
	v_fmac_f32_e32 v4, 0xcf800000, v7
	v_cvt_u32_f32_e32 v7, v7
	v_cvt_u32_f32_e32 v4, v4
	v_mul_lo_u32 v8, s0, v7
	v_mul_hi_u32 v9, s0, v4
	v_mul_lo_u32 v10, s26, v4
	v_add_nc_u32_e32 v8, v9, v8
	v_mul_lo_u32 v9, s0, v4
	v_add_nc_u32_e32 v8, v8, v10
	v_mul_hi_u32 v10, v4, v9
	v_mul_lo_u32 v11, v4, v8
	v_mul_hi_u32 v12, v4, v8
	v_mul_hi_u32 v13, v7, v9
	v_mul_lo_u32 v9, v7, v9
	v_mul_hi_u32 v14, v7, v8
	v_mul_lo_u32 v8, v7, v8
	v_add_co_u32 v10, vcc_lo, v10, v11
	v_add_co_ci_u32_e32 v11, vcc_lo, 0, v12, vcc_lo
	v_add_co_u32 v9, vcc_lo, v10, v9
	v_add_co_ci_u32_e32 v9, vcc_lo, v11, v13, vcc_lo
	v_add_co_ci_u32_e32 v10, vcc_lo, 0, v14, vcc_lo
	v_add_co_u32 v8, vcc_lo, v9, v8
	v_add_co_ci_u32_e32 v9, vcc_lo, 0, v10, vcc_lo
	v_add_co_u32 v4, vcc_lo, v4, v8
	v_add_co_ci_u32_e32 v7, vcc_lo, v7, v9, vcc_lo
	v_mul_hi_u32 v8, s0, v4
	v_mul_lo_u32 v10, s26, v4
	v_mul_lo_u32 v9, s0, v7
	v_add_nc_u32_e32 v8, v8, v9
	v_mul_lo_u32 v9, s0, v4
	v_add_nc_u32_e32 v8, v8, v10
	v_mul_hi_u32 v10, v4, v9
	v_mul_lo_u32 v11, v4, v8
	v_mul_hi_u32 v12, v4, v8
	v_mul_hi_u32 v13, v7, v9
	v_mul_lo_u32 v9, v7, v9
	v_mul_hi_u32 v14, v7, v8
	v_mul_lo_u32 v8, v7, v8
	v_add_co_u32 v10, vcc_lo, v10, v11
	v_add_co_ci_u32_e32 v11, vcc_lo, 0, v12, vcc_lo
	v_add_co_u32 v9, vcc_lo, v10, v9
	v_add_co_ci_u32_e32 v9, vcc_lo, v11, v13, vcc_lo
	v_add_co_ci_u32_e32 v10, vcc_lo, 0, v14, vcc_lo
	v_add_co_u32 v8, vcc_lo, v9, v8
	v_add_co_ci_u32_e32 v9, vcc_lo, 0, v10, vcc_lo
	v_add_co_u32 v4, vcc_lo, v4, v8
	v_add_co_ci_u32_e32 v11, vcc_lo, v7, v9, vcc_lo
	v_mul_hi_u32 v13, v5, v4
	v_mad_u64_u32 v[9:10], null, v6, v4, 0
	v_mad_u64_u32 v[7:8], null, v5, v11, 0
	;; [unrolled: 1-line block ×3, first 2 shown]
	v_add_co_u32 v4, vcc_lo, v13, v7
	v_add_co_ci_u32_e32 v7, vcc_lo, 0, v8, vcc_lo
	v_add_co_u32 v4, vcc_lo, v4, v9
	v_add_co_ci_u32_e32 v4, vcc_lo, v7, v10, vcc_lo
	v_add_co_ci_u32_e32 v7, vcc_lo, 0, v12, vcc_lo
	v_add_co_u32 v4, vcc_lo, v4, v11
	v_add_co_ci_u32_e32 v9, vcc_lo, 0, v7, vcc_lo
	v_mul_lo_u32 v10, s25, v4
	v_mad_u64_u32 v[7:8], null, s24, v4, 0
	v_mul_lo_u32 v11, s24, v9
	v_sub_co_u32 v7, vcc_lo, v5, v7
	v_add3_u32 v8, v8, v11, v10
	v_sub_nc_u32_e32 v10, v6, v8
	v_subrev_co_ci_u32_e64 v10, s0, s25, v10, vcc_lo
	v_add_co_u32 v11, s0, v4, 2
	v_add_co_ci_u32_e64 v12, s0, 0, v9, s0
	v_sub_co_u32 v13, s0, v7, s24
	v_sub_co_ci_u32_e32 v8, vcc_lo, v6, v8, vcc_lo
	v_subrev_co_ci_u32_e64 v10, s0, 0, v10, s0
	v_cmp_le_u32_e32 vcc_lo, s24, v13
	v_cmp_eq_u32_e64 s0, s25, v8
	v_cndmask_b32_e64 v13, 0, -1, vcc_lo
	v_cmp_le_u32_e32 vcc_lo, s25, v10
	v_cndmask_b32_e64 v14, 0, -1, vcc_lo
	v_cmp_le_u32_e32 vcc_lo, s24, v7
	;; [unrolled: 2-line block ×3, first 2 shown]
	v_cndmask_b32_e64 v15, 0, -1, vcc_lo
	v_cmp_eq_u32_e32 vcc_lo, s25, v10
	v_cndmask_b32_e64 v7, v15, v7, s0
	v_cndmask_b32_e32 v10, v14, v13, vcc_lo
	v_add_co_u32 v13, vcc_lo, v4, 1
	v_add_co_ci_u32_e32 v14, vcc_lo, 0, v9, vcc_lo
	v_cmp_ne_u32_e32 vcc_lo, 0, v10
	v_cndmask_b32_e32 v8, v14, v12, vcc_lo
	v_cndmask_b32_e32 v10, v13, v11, vcc_lo
	v_cmp_ne_u32_e32 vcc_lo, 0, v7
	v_cndmask_b32_e32 v41, v9, v8, vcc_lo
	v_cndmask_b32_e32 v40, v4, v10, vcc_lo
.LBB0_4:                                ;   in Loop: Header=BB0_2 Depth=1
	s_andn2_saveexec_b32 s0, s1
	s_cbranch_execz .LBB0_6
; %bb.5:                                ;   in Loop: Header=BB0_2 Depth=1
	v_cvt_f32_u32_e32 v4, s24
	s_sub_i32 s1, 0, s24
	v_mov_b32_e32 v41, v3
	v_rcp_iflag_f32_e32 v4, v4
	v_mul_f32_e32 v4, 0x4f7ffffe, v4
	v_cvt_u32_f32_e32 v4, v4
	v_mul_lo_u32 v7, s1, v4
	v_mul_hi_u32 v7, v4, v7
	v_add_nc_u32_e32 v4, v4, v7
	v_mul_hi_u32 v4, v5, v4
	v_mul_lo_u32 v7, v4, s24
	v_add_nc_u32_e32 v8, 1, v4
	v_sub_nc_u32_e32 v7, v5, v7
	v_subrev_nc_u32_e32 v9, s24, v7
	v_cmp_le_u32_e32 vcc_lo, s24, v7
	v_cndmask_b32_e32 v7, v7, v9, vcc_lo
	v_cndmask_b32_e32 v4, v4, v8, vcc_lo
	v_cmp_le_u32_e32 vcc_lo, s24, v7
	v_add_nc_u32_e32 v8, 1, v4
	v_cndmask_b32_e32 v40, v4, v8, vcc_lo
.LBB0_6:                                ;   in Loop: Header=BB0_2 Depth=1
	s_or_b32 exec_lo, exec_lo, s0
	v_mul_lo_u32 v4, v41, s24
	v_mul_lo_u32 v9, v40, s25
	s_load_dwordx2 s[0:1], s[6:7], 0x0
	v_mad_u64_u32 v[7:8], null, v40, s24, 0
	s_load_dwordx2 s[24:25], s[2:3], 0x0
	s_add_u32 s22, s22, 1
	s_addc_u32 s23, s23, 0
	s_add_u32 s2, s2, 8
	s_addc_u32 s3, s3, 0
	s_add_u32 s6, s6, 8
	v_add3_u32 v4, v8, v9, v4
	v_sub_co_u32 v5, vcc_lo, v5, v7
	s_addc_u32 s7, s7, 0
	s_add_u32 s20, s20, 8
	v_sub_co_ci_u32_e32 v4, vcc_lo, v6, v4, vcc_lo
	s_addc_u32 s21, s21, 0
	s_waitcnt lgkmcnt(0)
	v_mul_lo_u32 v6, s0, v4
	v_mul_lo_u32 v7, s1, v5
	v_mad_u64_u32 v[1:2], null, s0, v5, v[1:2]
	v_mul_lo_u32 v4, s24, v4
	v_mul_lo_u32 v8, s25, v5
	v_mad_u64_u32 v[36:37], null, s24, v5, v[36:37]
	v_cmp_ge_u64_e64 s0, s[22:23], s[14:15]
	v_add3_u32 v2, v7, v2, v6
	v_add3_u32 v37, v8, v37, v4
	s_and_b32 vcc_lo, exec_lo, s0
	s_cbranch_vccnz .LBB0_9
; %bb.7:                                ;   in Loop: Header=BB0_2 Depth=1
	v_mov_b32_e32 v5, v40
	v_mov_b32_e32 v6, v41
	s_branch .LBB0_2
.LBB0_8:
	v_mov_b32_e32 v37, v2
	v_mov_b32_e32 v41, v6
	;; [unrolled: 1-line block ×4, first 2 shown]
.LBB0_9:
	s_load_dwordx2 s[0:1], s[4:5], 0x28
	v_mul_hi_u32 v3, 0x226b903, v0
	s_lshl_b64 s[4:5], s[14:15], 3
                                        ; implicit-def: $vgpr38
	s_add_u32 s2, s18, s4
	s_addc_u32 s3, s19, s5
	s_waitcnt lgkmcnt(0)
	v_cmp_gt_u64_e32 vcc_lo, s[0:1], v[40:41]
	v_cmp_le_u64_e64 s0, s[0:1], v[40:41]
	s_and_saveexec_b32 s1, s0
	s_xor_b32 s0, exec_lo, s1
; %bb.10:
	v_mul_u32_u24_e32 v1, 0x77, v3
                                        ; implicit-def: $vgpr3
	v_sub_nc_u32_e32 v38, v0, v1
                                        ; implicit-def: $vgpr0
                                        ; implicit-def: $vgpr1_vgpr2
; %bb.11:
	s_andn2_saveexec_b32 s1, s0
	s_cbranch_execz .LBB0_13
; %bb.12:
	s_add_u32 s4, s16, s4
	s_addc_u32 s5, s17, s5
	v_lshlrev_b64 v[1:2], 3, v[1:2]
	s_load_dwordx2 s[4:5], s[4:5], 0x0
	s_waitcnt lgkmcnt(0)
	v_mul_lo_u32 v6, s5, v40
	v_mul_lo_u32 v7, s4, v41
	v_mad_u64_u32 v[4:5], null, s4, v40, 0
	v_add3_u32 v5, v5, v7, v6
	v_mul_u32_u24_e32 v6, 0x77, v3
	v_lshlrev_b64 v[3:4], 3, v[4:5]
	v_sub_nc_u32_e32 v38, v0, v6
	v_lshlrev_b32_e32 v24, 3, v38
	v_add_co_u32 v0, s0, s8, v3
	v_add_co_ci_u32_e64 v3, s0, s9, v4, s0
	v_add_co_u32 v0, s0, v0, v1
	v_add_co_ci_u32_e64 v1, s0, v3, v2, s0
	;; [unrolled: 2-line block ×3, first 2 shown]
	v_add_nc_u32_e32 v24, 0, v24
	v_add_co_u32 v2, s0, 0x800, v0
	v_add_co_ci_u32_e64 v3, s0, 0, v1, s0
	v_add_co_u32 v4, s0, 0x1000, v0
	v_add_co_ci_u32_e64 v5, s0, 0, v1, s0
	;; [unrolled: 2-line block ×5, first 2 shown]
	s_clause 0xb
	global_load_dwordx2 v[12:13], v[0:1], off
	global_load_dwordx2 v[14:15], v[0:1], off offset:952
	global_load_dwordx2 v[0:1], v[0:1], off offset:1904
	;; [unrolled: 1-line block ×11, first 2 shown]
	v_add_nc_u32_e32 v25, 0x400, v24
	v_add_nc_u32_e32 v26, 0xc00, v24
	;; [unrolled: 1-line block ×5, first 2 shown]
	s_waitcnt vmcnt(10)
	ds_write2_b64 v24, v[12:13], v[14:15] offset1:119
	s_waitcnt vmcnt(8)
	ds_write2_b64 v25, v[0:1], v[16:17] offset0:110 offset1:229
	s_waitcnt vmcnt(6)
	ds_write2_b64 v26, v[2:3], v[18:19] offset0:92 offset1:211
	s_waitcnt vmcnt(4)
	ds_write2_b64 v27, v[4:5], v[20:21] offset0:74 offset1:193
	s_waitcnt vmcnt(2)
	ds_write2_b64 v28, v[6:7], v[22:23] offset0:56 offset1:175
	s_waitcnt vmcnt(0)
	ds_write2_b64 v29, v[8:9], v[10:11] offset0:38 offset1:157
.LBB0_13:
	s_or_b32 exec_lo, exec_lo, s1
	v_lshl_add_u32 v58, v38, 3, 0
	s_waitcnt lgkmcnt(0)
	s_barrier
	buffer_gl0_inv
	s_mov_b32 s1, exec_lo
	ds_read2_b64 v[4:7], v58 offset1:84
	ds_read_b64 v[42:43], v58 offset:10752
	v_add_nc_u32_e32 v0, 0x2000, v58
	v_add_nc_u32_e32 v59, 0x1c00, v58
	;; [unrolled: 1-line block ×3, first 2 shown]
	ds_read2_b64 v[20:23], v58 offset0:168 offset1:252
	ds_read2_b64 v[8:11], v0 offset0:152 offset1:236
	v_add_nc_u32_e32 v0, 0x800, v58
	v_add_nc_u32_e32 v60, 0x1800, v58
	ds_read2_b64 v[16:19], v0 offset0:80 offset1:164
	ds_read2_b64 v[12:15], v59 offset0:112 offset1:196
	;; [unrolled: 1-line block ×4, first 2 shown]
	s_waitcnt lgkmcnt(6)
	v_sub_f32_e32 v77, v7, v43
	v_add_f32_e32 v65, v42, v6
	v_add_f32_e32 v78, v43, v7
	v_sub_f32_e32 v70, v6, v42
	s_waitcnt lgkmcnt(4)
	v_sub_f32_e32 v81, v21, v11
	v_mul_f32_e32 v54, 0xbf7ee86f, v77
	v_add_f32_e32 v63, v10, v20
	v_sub_f32_e32 v80, v23, v9
	v_add_f32_e32 v62, v8, v22
	v_mul_f32_e32 v93, 0xbe3c28d5, v81
	v_fma_f32 v0, 0x3dbcf732, v65, -v54
	s_waitcnt lgkmcnt(2)
	v_sub_f32_e32 v79, v17, v15
	v_mul_f32_e32 v55, 0x3f763a35, v80
	v_mul_f32_e32 v94, 0x3dbcf732, v78
	v_fma_f32 v2, 0xbf7ba420, v63, -v93
	v_add_f32_e32 v0, v4, v0
	v_add_f32_e32 v86, v11, v21
	;; [unrolled: 1-line block ×3, first 2 shown]
	v_mul_f32_e32 v57, 0x3eb8f4ab, v79
	v_fma_f32 v32, 0xbe8c1d8e, v62, -v55
	v_add_f32_e32 v0, v2, v0
	v_sub_f32_e32 v84, v19, v13
	v_sub_f32_e32 v67, v20, v10
	v_add_f32_e32 v83, v9, v23
	v_fmamk_f32 v1, v70, 0xbf7ee86f, v94
	v_mul_f32_e32 v97, 0xbf7ba420, v86
	v_fma_f32 v2, 0x3f6eb680, v61, -v57
	v_add_f32_e32 v0, v32, v0
	v_add_f32_e32 v68, v12, v18
	v_mul_f32_e32 v56, 0xbf65296c, v84
	v_sub_f32_e32 v66, v22, v8
	v_mul_f32_e32 v96, 0xbe8c1d8e, v83
	v_add_f32_e32 v1, v5, v1
	v_fmamk_f32 v3, v67, 0xbe3c28d5, v97
	v_add_f32_e32 v0, v2, v0
	v_fma_f32 v2, 0x3ee437d1, v68, -v56
	s_waitcnt lgkmcnt(0)
	v_sub_f32_e32 v87, v29, v27
	v_fmamk_f32 v33, v66, 0x3f763a35, v96
	v_add_f32_e32 v1, v3, v1
	v_add_f32_e32 v71, v26, v28
	;; [unrolled: 1-line block ×3, first 2 shown]
	v_add_nc_u32_e32 v2, 0x1000, v58
	v_mul_f32_e32 v98, 0xbf06c442, v87
	v_sub_f32_e32 v89, v31, v25
	v_add_f32_e32 v1, v33, v1
	v_add_f32_e32 v73, v24, v30
	ds_read2_b64 v[32:35], v2 offset0:160 offset1:244
	v_fma_f32 v2, 0xbf59a7d5, v71, -v98
	v_mul_f32_e32 v100, 0x3f4c4adb, v89
	v_mul_f32_e32 v52, 0xbf763a35, v77
	;; [unrolled: 1-line block ×4, first 2 shown]
	v_add_f32_e32 v0, v2, v0
	v_fma_f32 v2, 0xbf1a4643, v73, -v100
	v_mul_f32_e32 v133, 0xbf59a7d5, v86
	v_fmamk_f32 v44, v70, 0xbf763a35, v50
	v_add_f32_e32 v82, v15, v17
	v_fma_f32 v45, 0xbf59a7d5, v63, -v128
	v_add_f32_e32 v0, v2, v0
	v_fma_f32 v2, 0xbe8c1d8e, v65, -v52
	v_mul_f32_e32 v127, 0x3f2c7751, v80
	v_add_f32_e32 v44, v5, v44
	v_fmamk_f32 v46, v67, 0x3f06c442, v133
	v_mul_f32_e32 v131, 0x3f3d2fb0, v83
	v_add_f32_e32 v2, v4, v2
	v_sub_f32_e32 v64, v16, v14
	v_mul_f32_e32 v99, 0x3f6eb680, v82
	v_add_f32_e32 v85, v13, v19
	v_mul_f32_e32 v125, 0xbf65296c, v79
	v_add_f32_e32 v2, v45, v2
	v_fma_f32 v45, 0x3f3d2fb0, v62, -v127
	v_add_f32_e32 v44, v46, v44
	v_fmamk_f32 v46, v66, 0x3f2c7751, v131
	v_mul_f32_e32 v132, 0x3ee437d1, v82
	v_fmamk_f32 v3, v64, 0x3eb8f4ab, v99
	v_sub_f32_e32 v69, v18, v12
	v_mul_f32_e32 v95, 0x3ee437d1, v85
	v_add_f32_e32 v88, v27, v29
	v_add_f32_e32 v2, v45, v2
	v_fma_f32 v45, 0x3ee437d1, v61, -v125
	v_mul_f32_e32 v124, 0xbe3c28d5, v84
	v_add_f32_e32 v44, v46, v44
	v_fmamk_f32 v46, v64, 0xbf65296c, v132
	v_mul_f32_e32 v53, 0xbf7ba420, v85
	v_add_f32_e32 v1, v3, v1
	v_fmamk_f32 v3, v69, 0xbf65296c, v95
	v_sub_f32_e32 v72, v28, v26
	v_mul_f32_e32 v103, 0xbf59a7d5, v88
	v_add_f32_e32 v91, v25, v31
	v_add_f32_e32 v2, v45, v2
	v_fma_f32 v45, 0xbf7ba420, v68, -v124
	v_mul_f32_e32 v123, 0x3f7ee86f, v87
	v_add_f32_e32 v44, v46, v44
	v_fmamk_f32 v46, v69, 0xbe3c28d5, v53
	v_mul_f32_e32 v130, 0x3dbcf732, v88
	v_add_f32_e32 v1, v3, v1
	v_fmamk_f32 v3, v72, 0xbf06c442, v103
	v_sub_f32_e32 v74, v30, v24
	v_mul_f32_e32 v102, 0xbf1a4643, v91
	s_waitcnt lgkmcnt(0)
	v_sub_f32_e32 v90, v33, v35
	v_add_f32_e32 v92, v35, v33
	v_add_f32_e32 v2, v45, v2
	v_fma_f32 v45, 0x3dbcf732, v71, -v123
	v_mul_f32_e32 v122, 0xbeb8f4ab, v89
	v_add_f32_e32 v44, v46, v44
	v_fmamk_f32 v46, v72, 0x3f7ee86f, v130
	v_mul_f32_e32 v129, 0x3f6eb680, v91
	v_add_f32_e32 v1, v3, v1
	v_fmamk_f32 v3, v74, 0x3f4c4adb, v102
	v_add_f32_e32 v75, v34, v32
	v_sub_f32_e32 v76, v32, v34
	v_mul_f32_e32 v101, 0x3f2c7751, v90
	v_mul_f32_e32 v108, 0x3f3d2fb0, v92
	v_add_f32_e32 v2, v45, v2
	v_fma_f32 v45, 0x3f6eb680, v73, -v122
	v_mul_f32_e32 v121, 0xbf4c4adb, v90
	v_add_f32_e32 v44, v46, v44
	v_fmamk_f32 v46, v74, 0xbeb8f4ab, v129
	v_mul_f32_e32 v126, 0xbf1a4643, v92
	v_add_f32_e32 v1, v3, v1
	v_fma_f32 v3, 0x3f3d2fb0, v75, -v101
	v_fmamk_f32 v47, v76, 0x3f2c7751, v108
	v_add_f32_e32 v45, v45, v2
	v_fma_f32 v48, 0xbf1a4643, v75, -v121
	v_add_f32_e32 v44, v46, v44
	v_fmamk_f32 v46, v76, 0xbf4c4adb, v126
	v_add_f32_e32 v2, v3, v0
	v_add_f32_e32 v3, v47, v1
	;; [unrolled: 1-line block ×4, first 2 shown]
	s_barrier
	buffer_gl0_inv
	v_cmpx_gt_u32_e32 0x54, v38
	s_cbranch_execz .LBB0_15
; %bb.14:
	v_mul_f32_e32 v48, 0xbf4c4adb, v70
	v_mul_f32_e32 v119, 0xbf4c4adb, v77
	;; [unrolled: 1-line block ×5, first 2 shown]
	v_fmamk_f32 v44, v78, 0xbf1a4643, v48
	v_fma_f32 v45, 0xbf1a4643, v65, -v119
	v_fmamk_f32 v46, v86, 0xbe8c1d8e, v51
	v_mul_f32_e32 v137, 0xbeb8f4ab, v80
	v_fma_f32 v47, 0xbe8c1d8e, v63, -v136
	v_add_f32_e32 v44, v5, v44
	v_add_f32_e32 v45, v4, v45
	v_mul_f32_e32 v134, 0xbf06c442, v64
	v_fmamk_f32 v49, v83, 0x3f6eb680, v118
	v_mul_f32_e32 v138, 0xbf06c442, v79
	v_add_f32_e32 v44, v46, v44
	v_fma_f32 v46, 0x3f6eb680, v62, -v137
	v_add_f32_e32 v45, v47, v45
	v_mul_f32_e32 v135, 0x3f7ee86f, v69
	v_fmamk_f32 v47, v82, 0xbf59a7d5, v134
	v_add_f32_e32 v44, v49, v44
	v_mul_f32_e32 v139, 0x3f7ee86f, v84
	v_fma_f32 v49, 0xbf59a7d5, v61, -v138
	v_add_f32_e32 v45, v46, v45
	v_fmamk_f32 v46, v85, 0x3dbcf732, v135
	v_add_f32_e32 v44, v47, v44
	v_mul_f32_e32 v140, 0xbf2c7751, v72
	v_fma_f32 v47, 0x3dbcf732, v68, -v139
	v_add_f32_e32 v45, v49, v45
	v_mul_f32_e32 v49, 0xbe3c28d5, v70
	v_mul_f32_e32 v141, 0xbf2c7751, v87
	v_add_f32_e32 v44, v46, v44
	v_fmamk_f32 v46, v88, 0x3f3d2fb0, v140
	v_add_f32_e32 v45, v47, v45
	v_fmamk_f32 v47, v78, 0xbf7ba420, v49
	v_mul_f32_e32 v104, 0x3eb8f4ab, v67
	v_mul_f32_e32 v142, 0xbe3c28d5, v74
	v_fma_f32 v105, 0x3f3d2fb0, v71, -v141
	v_add_f32_e32 v44, v46, v44
	v_add_f32_e32 v46, v5, v47
	v_fmamk_f32 v47, v86, 0x3f6eb680, v104
	v_mul_f32_e32 v106, 0xbf06c442, v66
	v_mul_f32_e32 v143, 0xbe3c28d5, v89
	v_fmamk_f32 v107, v91, 0xbf7ba420, v142
	v_add_f32_e32 v45, v105, v45
	v_add_f32_e32 v46, v47, v46
	v_fmamk_f32 v47, v83, 0xbf59a7d5, v106
	v_mul_f32_e32 v105, 0x3f2c7751, v64
	v_fma_f32 v109, 0xbf7ba420, v73, -v143
	v_add_f32_e32 v44, v107, v44
	v_mul_f32_e32 v107, 0xbf4c4adb, v69
	v_add_f32_e32 v46, v47, v46
	v_fmamk_f32 v47, v82, 0x3f3d2fb0, v105
	v_mul_f32_e32 v111, 0xbe3c28d5, v77
	v_mul_f32_e32 v144, 0x3f65296c, v76
	v_add_f32_e32 v109, v109, v45
	v_mul_f32_e32 v114, 0x3eb8f4ab, v81
	v_add_f32_e32 v45, v47, v46
	v_fmamk_f32 v46, v85, 0xbf1a4643, v107
	v_mul_f32_e32 v47, 0x3f65296c, v72
	v_fma_f32 v113, 0xbf7ba420, v65, -v111
	v_mul_f32_e32 v145, 0x3f65296c, v90
	v_fmamk_f32 v110, v92, 0x3ee437d1, v144
	v_add_f32_e32 v46, v46, v45
	v_fmamk_f32 v115, v88, 0x3ee437d1, v47
	v_mul_f32_e32 v116, 0xbf763a35, v74
	v_add_f32_e32 v113, v4, v113
	v_fma_f32 v117, 0x3f6eb680, v63, -v114
	v_mul_f32_e32 v120, 0xbf06c442, v80
	v_fma_f32 v112, 0x3ee437d1, v75, -v145
	v_add_f32_e32 v45, v110, v44
	v_add_f32_e32 v46, v115, v46
	v_fmamk_f32 v110, v91, 0xbe8c1d8e, v116
	v_add_f32_e32 v113, v117, v113
	v_fma_f32 v115, 0xbf59a7d5, v62, -v120
	v_mul_f32_e32 v117, 0x3f2c7751, v79
	v_add_f32_e32 v44, v112, v109
	v_add_f32_e32 v46, v110, v46
	v_fma_f32 v49, 0xbf7ba420, v78, -v49
	v_add_f32_e32 v109, v115, v113
	v_fma_f32 v110, 0x3f3d2fb0, v61, -v117
	v_fmac_f32_e32 v111, 0xbf7ba420, v65
	v_fma_f32 v104, 0x3f6eb680, v86, -v104
	v_add_f32_e32 v49, v5, v49
	v_fmac_f32_e32 v114, 0x3f6eb680, v63
	v_add_f32_e32 v109, v110, v109
	v_add_f32_e32 v110, v4, v111
	v_mul_f32_e32 v112, 0xbf4c4adb, v84
	v_add_f32_e32 v49, v104, v49
	v_fma_f32 v104, 0xbf59a7d5, v83, -v106
	v_fmac_f32_e32 v120, 0xbf59a7d5, v62
	v_add_f32_e32 v110, v114, v110
	v_fma_f32 v111, 0xbf1a4643, v68, -v112
	v_mul_f32_e32 v106, 0x3f65296c, v87
	v_add_f32_e32 v49, v104, v49
	v_fma_f32 v104, 0x3f3d2fb0, v82, -v105
	v_add_f32_e32 v110, v120, v110
	v_fmac_f32_e32 v117, 0x3f3d2fb0, v61
	v_add_f32_e32 v109, v111, v109
	v_fma_f32 v105, 0x3ee437d1, v71, -v106
	v_mul_f32_e32 v111, 0xbf763a35, v89
	v_add_f32_e32 v49, v104, v49
	v_fma_f32 v104, 0xbf1a4643, v85, -v107
	v_add_f32_e32 v107, v117, v110
	v_fmac_f32_e32 v112, 0xbf1a4643, v68
	v_add_f32_e32 v105, v105, v109
	v_fma_f32 v109, 0xbe8c1d8e, v73, -v111
	v_add_f32_e32 v49, v104, v49
	v_mul_f32_e32 v110, 0x3f7ee86f, v76
	v_fma_f32 v47, 0x3ee437d1, v88, -v47
	v_add_f32_e32 v104, v112, v107
	v_fmac_f32_e32 v106, 0x3ee437d1, v71
	v_mul_f32_e32 v120, 0x3f7ee86f, v90
	v_add_f32_e32 v107, v109, v105
	v_add_f32_e32 v49, v47, v49
	v_fmamk_f32 v47, v92, 0x3dbcf732, v110
	v_add_f32_e32 v104, v106, v104
	v_fma_f32 v106, 0x3dbcf732, v75, -v120
	v_fmac_f32_e32 v111, 0xbe8c1d8e, v73
	v_mul_f32_e32 v105, 0xbf59a7d5, v78
	v_fma_f32 v109, 0xbe8c1d8e, v91, -v116
	v_add_f32_e32 v47, v47, v46
	v_add_f32_e32 v46, v106, v107
	;; [unrolled: 1-line block ×3, first 2 shown]
	v_fmamk_f32 v106, v70, 0x3f06c442, v105
	v_mul_f32_e32 v104, 0x3ee437d1, v86
	v_add_f32_e32 v49, v109, v49
	v_fma_f32 v107, 0x3dbcf732, v92, -v110
	v_mul_f32_e32 v112, 0xbf06c442, v77
	v_add_f32_e32 v109, v5, v106
	v_fmamk_f32 v110, v67, 0xbf65296c, v104
	v_mul_f32_e32 v106, 0x3dbcf732, v83
	v_add_f32_e32 v49, v107, v49
	v_mul_f32_e32 v107, 0xbf1a4643, v82
	v_fmac_f32_e32 v120, 0x3dbcf732, v75
	v_add_f32_e32 v109, v110, v109
	v_fmamk_f32 v110, v66, 0x3f7ee86f, v106
	v_fmamk_f32 v111, v65, 0xbf59a7d5, v112
	;; [unrolled: 1-line block ×3, first 2 shown]
	v_mul_f32_e32 v113, 0x3f65296c, v81
	v_mul_f32_e32 v114, 0xbf7ee86f, v80
	v_add_f32_e32 v110, v110, v109
	v_mul_f32_e32 v109, 0x3f6eb680, v85
	v_add_f32_e32 v111, v4, v111
	v_fmamk_f32 v115, v63, 0x3ee437d1, v113
	v_fma_f32 v51, 0xbe8c1d8e, v86, -v51
	v_add_f32_e32 v147, v116, v110
	v_fmamk_f32 v148, v69, 0x3eb8f4ab, v109
	v_mul_f32_e32 v110, 0xbf7ba420, v88
	v_add_f32_e32 v111, v115, v111
	v_fmamk_f32 v117, v62, 0x3dbcf732, v114
	v_fmac_f32_e32 v119, 0xbf1a4643, v65
	v_add_f32_e32 v147, v148, v147
	v_fmamk_f32 v148, v72, 0x3e3c28d5, v110
	v_mul_f32_e32 v115, 0x3f4c4adb, v79
	v_add_f32_e32 v117, v117, v111
	v_mul_f32_e32 v111, 0x3f3d2fb0, v91
	v_add_f32_e32 v119, v4, v119
	v_add_f32_e32 v147, v148, v147
	v_fma_f32 v148, 0xbf1a4643, v78, -v48
	v_add_f32_e32 v48, v120, v146
	v_fmac_f32_e32 v136, 0xbe8c1d8e, v63
	v_fma_f32 v134, 0xbf59a7d5, v82, -v134
	v_fmamk_f32 v149, v61, 0xbf1a4643, v115
	v_add_f32_e32 v146, v5, v148
	v_mul_f32_e32 v116, 0xbeb8f4ab, v84
	v_fmamk_f32 v151, v74, 0xbf2c7751, v111
	v_add_f32_e32 v119, v136, v119
	v_fmac_f32_e32 v137, 0x3f6eb680, v62
	v_add_f32_e32 v51, v51, v146
	v_fma_f32 v146, 0x3f6eb680, v83, -v118
	v_mul_f32_e32 v118, 0xbe8c1d8e, v92
	v_fma_f32 v135, 0x3dbcf732, v85, -v135
	v_add_f32_e32 v149, v149, v117
	v_fmamk_f32 v150, v68, 0x3f6eb680, v116
	v_add_f32_e32 v51, v146, v51
	v_mul_f32_e32 v117, 0xbe3c28d5, v87
	v_add_f32_e32 v147, v151, v147
	v_fmamk_f32 v146, v76, 0x3f763a35, v118
	v_add_f32_e32 v137, v137, v119
	v_add_f32_e32 v134, v134, v51
	v_fmac_f32_e32 v138, 0xbf59a7d5, v61
	v_add_f32_e32 v149, v150, v149
	v_fmamk_f32 v150, v71, 0xbf7ba420, v117
	v_mul_f32_e32 v120, 0x3f2c7751, v89
	v_add_f32_e32 v134, v135, v134
	v_fma_f32 v135, 0x3f3d2fb0, v88, -v140
	v_mul_f32_e32 v140, 0xbf763a35, v70
	v_add_f32_e32 v51, v146, v147
	v_add_f32_e32 v137, v138, v137
	v_fmac_f32_e32 v139, 0x3dbcf732, v68
	v_mul_f32_e32 v146, 0x3f06c442, v67
	v_sub_f32_e32 v50, v50, v140
	v_add_f32_e32 v148, v150, v149
	v_fmamk_f32 v149, v73, 0x3f3d2fb0, v120
	v_mul_f32_e32 v119, 0xbf763a35, v90
	v_add_f32_e32 v134, v135, v134
	v_add_f32_e32 v135, v139, v137
	v_sub_f32_e32 v133, v133, v146
	v_add_f32_e32 v50, v5, v50
	v_mul_f32_e32 v137, 0x3f2c7751, v66
	v_add_f32_e32 v136, v149, v148
	v_fmamk_f32 v138, v75, 0xbe8c1d8e, v119
	v_fma_f32 v139, 0xbf7ba420, v91, -v142
	v_add_f32_e32 v133, v133, v50
	v_sub_f32_e32 v131, v131, v137
	v_mul_f32_e32 v137, 0xbf65296c, v64
	v_add_f32_e32 v50, v138, v136
	v_add_f32_e32 v134, v139, v134
	v_fma_f32 v136, 0x3ee437d1, v92, -v144
	v_add_f32_e32 v131, v131, v133
	v_sub_f32_e32 v132, v132, v137
	v_mul_f32_e32 v133, 0xbe3c28d5, v69
	v_mul_f32_e32 v137, 0xbe8c1d8e, v65
	v_add_f32_e32 v7, v5, v7
	v_add_f32_e32 v6, v4, v6
	;; [unrolled: 1-line block ×3, first 2 shown]
	v_sub_f32_e32 v132, v53, v133
	v_mul_f32_e32 v133, 0xbf59a7d5, v63
	v_add_f32_e32 v52, v137, v52
	v_add_f32_e32 v53, v136, v134
	v_mul_f32_e32 v134, 0x3f7ee86f, v72
	v_add_f32_e32 v131, v132, v131
	v_add_f32_e32 v128, v133, v128
	;; [unrolled: 1-line block ×3, first 2 shown]
	v_mul_f32_e32 v133, 0x3f3d2fb0, v62
	v_sub_f32_e32 v130, v130, v134
	v_mul_f32_e32 v134, 0xbeb8f4ab, v74
	v_add_f32_e32 v7, v7, v21
	v_add_f32_e32 v128, v128, v132
	;; [unrolled: 1-line block ×4, first 2 shown]
	v_mul_f32_e32 v131, 0xbf7ee86f, v70
	v_mul_f32_e32 v132, 0x3ee437d1, v61
	v_sub_f32_e32 v129, v129, v134
	v_add_f32_e32 v127, v127, v128
	v_mul_f32_e32 v128, 0xbe3c28d5, v67
	v_sub_f32_e32 v94, v94, v131
	v_add_f32_e32 v125, v132, v125
	v_add_f32_e32 v129, v129, v130
	v_mul_f32_e32 v130, 0xbf7ba420, v68
	v_sub_f32_e32 v97, v97, v128
	v_add_f32_e32 v94, v5, v94
	v_add_f32_e32 v125, v125, v127
	v_mul_f32_e32 v127, 0x3f763a35, v66
	v_add_f32_e32 v124, v130, v124
	v_mul_f32_e32 v128, 0x3dbcf732, v65
	;; [unrolled: 2-line block ×3, first 2 shown]
	v_sub_f32_e32 v96, v96, v127
	v_add_f32_e32 v124, v124, v125
	v_mul_f32_e32 v125, 0x3eb8f4ab, v64
	v_mul_f32_e32 v127, 0xbf7ba420, v63
	v_add_f32_e32 v97, v97, v123
	v_add_f32_e32 v94, v96, v94
	;; [unrolled: 1-line block ×3, first 2 shown]
	v_sub_f32_e32 v99, v99, v125
	v_mul_f32_e32 v96, 0xbe8c1d8e, v62
	v_add_f32_e32 v97, v97, v124
	v_mul_f32_e32 v124, 0xbf65296c, v69
	v_mul_f32_e32 v128, 0x3f6eb680, v73
	v_add_f32_e32 v94, v99, v94
	v_add_f32_e32 v93, v127, v93
	v_add_f32_e32 v54, v4, v54
	v_sub_f32_e32 v95, v95, v124
	v_mul_f32_e32 v124, 0xbf06c442, v72
	v_mul_f32_e32 v123, 0xbf4c4adb, v76
	;; [unrolled: 1-line block ×3, first 2 shown]
	v_add_f32_e32 v122, v128, v122
	v_add_f32_e32 v94, v95, v94
	;; [unrolled: 1-line block ×4, first 2 shown]
	v_mul_f32_e32 v130, 0xbf1a4643, v75
	v_sub_f32_e32 v103, v103, v124
	v_sub_f32_e32 v123, v126, v123
	v_mul_f32_e32 v126, 0x3ee437d1, v68
	v_mul_f32_e32 v128, 0x3f4c4adb, v74
	v_add_f32_e32 v97, v122, v97
	v_add_f32_e32 v54, v96, v54
	;; [unrolled: 1-line block ×5, first 2 shown]
	v_mul_f32_e32 v103, 0x3ee437d1, v78
	v_mul_f32_e32 v99, 0xbf59a7d5, v71
	;; [unrolled: 1-line block ×3, first 2 shown]
	v_sub_f32_e32 v102, v102, v128
	v_add_f32_e32 v57, v57, v54
	v_add_f32_e32 v56, v126, v56
	v_add_f32_e32 v54, v96, v97
	v_fmamk_f32 v96, v70, 0x3f65296c, v103
	v_mul_f32_e32 v97, 0xbf1a4643, v86
	v_mul_f32_e32 v127, 0xbf1a4643, v73
	v_add_f32_e32 v94, v102, v94
	v_add_f32_e32 v56, v56, v57
	;; [unrolled: 1-line block ×4, first 2 shown]
	v_fmamk_f32 v98, v67, 0x3f4c4adb, v97
	v_mul_f32_e32 v99, 0xbf7ba420, v83
	v_sub_f32_e32 v93, v108, v93
	v_mul_f32_e32 v95, 0x3f3d2fb0, v75
	v_add_f32_e32 v56, v57, v56
	v_add_f32_e32 v100, v127, v100
	;; [unrolled: 1-line block ×3, first 2 shown]
	v_fmamk_f32 v98, v66, 0xbe3c28d5, v99
	v_mul_f32_e32 v102, 0xbe8c1d8e, v82
	v_add_f32_e32 v57, v93, v94
	v_mul_f32_e32 v93, 0xbf65296c, v77
	v_add_f32_e32 v56, v100, v56
	v_add_f32_e32 v94, v98, v96
	v_fmamk_f32 v96, v64, 0xbf763a35, v102
	v_mul_f32_e32 v98, 0x3f3d2fb0, v85
	v_add_f32_e32 v95, v95, v101
	v_fmamk_f32 v100, v65, 0x3ee437d1, v93
	v_mul_f32_e32 v101, 0xbf4c4adb, v81
	;; [unrolled: 3-line block ×6, first 2 shown]
	v_add_f32_e32 v94, v96, v94
	v_add_f32_e32 v6, v6, v20
	v_mul_f32_e32 v20, 0x3f3d2fb0, v78
	v_add_f32_e32 v96, v121, v100
	v_fmamk_f32 v100, v61, 0xbe8c1d8e, v124
	v_mul_f32_e32 v121, 0x3f2c7751, v84
	v_add_f32_e32 v7, v7, v23
	v_add_f32_e32 v6, v6, v22
	v_fmamk_f32 v22, v70, 0x3f2c7751, v20
	v_add_f32_e32 v96, v100, v96
	v_fmamk_f32 v100, v68, 0x3f3d2fb0, v121
	v_mul_f32_e32 v23, 0x3dbcf732, v86
	v_add_f32_e32 v55, v123, v129
	v_mul_f32_e32 v123, 0x3dbcf732, v91
	v_add_f32_e32 v22, v5, v22
	v_add_f32_e32 v21, v100, v96
	v_fmamk_f32 v96, v71, 0x3f6eb680, v126
	v_mul_f32_e32 v100, 0xbf7ee86f, v89
	v_add_f32_e32 v7, v7, v17
	v_add_f32_e32 v6, v6, v16
	v_mul_f32_e32 v127, 0xbf1a4643, v83
	v_add_f32_e32 v21, v96, v21
	v_fmamk_f32 v96, v67, 0x3f7ee86f, v23
	v_fmamk_f32 v17, v73, 0x3dbcf732, v100
	v_add_f32_e32 v56, v95, v56
	v_fmamk_f32 v95, v74, 0x3f7ee86f, v123
	v_mul_f32_e32 v125, 0xbf59a7d5, v92
	v_add_f32_e32 v16, v96, v22
	v_add_f32_e32 v19, v7, v19
	;; [unrolled: 1-line block ×3, first 2 shown]
	v_fmamk_f32 v18, v66, 0x3f4c4adb, v127
	v_mul_f32_e32 v22, 0xbf7ba420, v82
	v_add_f32_e32 v17, v17, v21
	v_mul_f32_e32 v21, 0xbf2c7751, v77
	v_add_f32_e32 v94, v95, v94
	v_fmamk_f32 v95, v76, 0x3f06c442, v125
	v_add_f32_e32 v16, v18, v16
	v_fmamk_f32 v18, v64, 0x3e3c28d5, v22
	v_add_f32_e32 v19, v19, v29
	v_add_f32_e32 v6, v6, v28
	v_fmamk_f32 v28, v65, 0x3f3d2fb0, v21
	v_mul_f32_e32 v29, 0xbf7ee86f, v81
	v_mul_f32_e32 v96, 0xbf06c442, v90
	v_add_f32_e32 v7, v95, v94
	v_mul_f32_e32 v95, 0xbf59a7d5, v85
	v_add_f32_e32 v16, v18, v16
	v_add_f32_e32 v18, v19, v31
	;; [unrolled: 1-line block ×3, first 2 shown]
	v_fmamk_f32 v28, v63, 0x3dbcf732, v29
	v_mul_f32_e32 v31, 0xbf4c4adb, v80
	v_fmamk_f32 v94, v75, 0xbf59a7d5, v96
	v_add_f32_e32 v30, v6, v30
	v_fmamk_f32 v128, v69, 0xbf06c442, v95
	v_mul_f32_e32 v129, 0xbe8c1d8e, v88
	v_add_f32_e32 v19, v28, v19
	v_fmamk_f32 v28, v62, 0xbf1a4643, v31
	v_mul_f32_e32 v130, 0xbe3c28d5, v79
	v_add_f32_e32 v18, v18, v33
	v_add_f32_e32 v6, v94, v17
	;; [unrolled: 1-line block ×3, first 2 shown]
	v_fmamk_f32 v17, v72, 0xbf763a35, v129
	v_add_f32_e32 v19, v28, v19
	v_fmamk_f32 v28, v61, 0xbf7ba420, v130
	v_add_f32_e32 v30, v30, v32
	v_mul_f32_e32 v32, 0x3f06c442, v84
	v_add_f32_e32 v18, v18, v35
	v_add_f32_e32 v16, v17, v16
	;; [unrolled: 1-line block ×4, first 2 shown]
	v_fmamk_f32 v28, v68, 0xbf59a7d5, v32
	v_mul_f32_e32 v30, 0x3f763a35, v87
	v_mul_f32_e32 v33, 0x3ee437d1, v91
	v_add_f32_e32 v18, v18, v25
	v_add_f32_e32 v19, v19, v24
	;; [unrolled: 1-line block ×3, first 2 shown]
	v_fmamk_f32 v24, v71, 0xbe8c1d8e, v30
	v_mul_f32_e32 v25, 0x3f65296c, v89
	v_add_f32_e32 v27, v18, v27
	v_fmamk_f32 v18, v74, 0xbf65296c, v33
	v_mul_f32_e32 v34, 0x3f6eb680, v78
	v_add_f32_e32 v26, v19, v26
	v_add_f32_e32 v17, v24, v17
	v_fmamk_f32 v19, v73, 0x3ee437d1, v25
	v_add_f32_e32 v16, v18, v16
	v_fmamk_f32 v18, v70, 0x3eb8f4ab, v34
	v_mul_f32_e32 v35, 0x3f3d2fb0, v86
	v_mul_f32_e32 v77, 0xbeb8f4ab, v77
	v_add_f32_e32 v19, v19, v17
	v_mul_f32_e32 v83, 0x3ee437d1, v83
	v_add_f32_e32 v17, v5, v18
	v_fmamk_f32 v18, v67, 0x3f2c7751, v35
	v_fmamk_f32 v94, v65, 0x3f6eb680, v77
	v_mul_f32_e32 v81, 0xbf2c7751, v81
	v_mul_f32_e32 v82, 0x3dbcf732, v82
	;; [unrolled: 1-line block ×3, first 2 shown]
	v_add_f32_e32 v17, v18, v17
	v_fmamk_f32 v18, v66, 0x3f65296c, v83
	v_add_f32_e32 v94, v4, v94
	v_fmamk_f32 v128, v63, 0x3f3d2fb0, v81
	v_mul_f32_e32 v85, 0xbe8c1d8e, v85
	v_mul_f32_e32 v28, 0x3f6eb680, v92
	v_add_f32_e32 v17, v18, v17
	v_fmamk_f32 v18, v64, 0x3f7ee86f, v82
	v_add_f32_e32 v94, v128, v94
	v_fmamk_f32 v128, v62, 0x3ee437d1, v80
	v_mul_f32_e32 v79, 0xbf7ee86f, v79
	v_mul_f32_e32 v88, 0xbf1a4643, v88
	v_add_f32_e32 v17, v18, v17
	v_fmamk_f32 v18, v69, 0x3f763a35, v85
	v_mul_f32_e32 v24, 0x3eb8f4ab, v90
	v_fmamk_f32 v78, v76, 0xbeb8f4ab, v28
	v_add_f32_e32 v94, v128, v94
	v_fmamk_f32 v128, v61, 0x3dbcf732, v79
	v_mul_f32_e32 v84, 0xbf763a35, v84
	v_add_f32_e32 v18, v18, v17
	v_fmamk_f32 v131, v72, 0x3f4c4adb, v88
	v_mul_f32_e32 v91, 0xbf59a7d5, v91
	v_fmamk_f32 v86, v75, 0x3f6eb680, v24
	v_add_f32_e32 v94, v128, v94
	v_fmamk_f32 v128, v68, 0xbe8c1d8e, v84
	v_mul_f32_e32 v87, 0xbf4c4adb, v87
	v_add_f32_e32 v17, v78, v16
	v_add_f32_e32 v18, v131, v18
	v_fmamk_f32 v78, v74, 0x3f06c442, v91
	v_add_f32_e32 v94, v128, v94
	v_fmamk_f32 v128, v71, 0xbf1a4643, v87
	v_add_f32_e32 v16, v86, v19
	v_mul_f32_e32 v86, 0xbf06c442, v89
	v_fmac_f32_e32 v105, 0xbf06c442, v70
	v_add_f32_e32 v18, v78, v18
	v_mul_f32_e32 v78, 0xbf7ba420, v92
	v_add_f32_e32 v19, v128, v94
	v_fmamk_f32 v89, v73, 0xbf59a7d5, v86
	v_add_f32_e32 v92, v5, v105
	v_fmac_f32_e32 v104, 0x3f65296c, v67
	v_mul_f32_e32 v90, 0xbe3c28d5, v90
	v_fmamk_f32 v94, v76, 0x3e3c28d5, v78
	v_fma_f32 v105, 0xbf59a7d5, v65, -v112
	v_add_f32_e32 v89, v89, v19
	v_add_f32_e32 v92, v104, v92
	v_fmamk_f32 v104, v75, 0xbf7ba420, v90
	v_add_f32_e32 v19, v94, v18
	v_fmac_f32_e32 v106, 0xbf7ee86f, v66
	v_add_f32_e32 v94, v4, v105
	v_fma_f32 v105, 0x3ee437d1, v63, -v113
	v_add_f32_e32 v18, v104, v89
	v_add_f32_e32 v13, v27, v13
	v_add_f32_e32 v27, v106, v92
	v_fmac_f32_e32 v107, 0x3f4c4adb, v64
	v_add_f32_e32 v89, v105, v94
	v_fma_f32 v92, 0x3dbcf732, v62, -v114
	v_add_f32_e32 v13, v13, v15
	v_add_f32_e32 v12, v26, v12
	;; [unrolled: 6-line block ×4, first 2 shown]
	v_add_f32_e32 v11, v110, v13
	v_fmac_f32_e32 v111, 0x3f2c7751, v74
	v_add_f32_e32 v12, v15, v14
	v_fma_f32 v13, 0xbf7ba420, v71, -v117
	v_add_f32_e32 v8, v8, v10
	v_fmac_f32_e32 v118, 0xbf763a35, v76
	v_add_f32_e32 v10, v111, v11
	v_fmac_f32_e32 v103, 0xbf65296c, v70
	v_add_f32_e32 v12, v13, v12
	v_fma_f32 v13, 0x3f3d2fb0, v73, -v120
	v_fma_f32 v14, 0x3ee437d1, v65, -v93
	v_add_f32_e32 v11, v118, v10
	v_fmac_f32_e32 v97, 0xbf4c4adb, v67
	v_fmac_f32_e32 v20, 0xbf2c7751, v70
	v_add_f32_e32 v10, v13, v12
	v_add_f32_e32 v12, v5, v103
	;; [unrolled: 1-line block ×3, first 2 shown]
	v_fma_f32 v14, 0xbf1a4643, v63, -v101
	v_fmac_f32_e32 v99, 0x3e3c28d5, v66
	v_add_f32_e32 v20, v5, v20
	v_add_f32_e32 v12, v97, v12
	v_fmac_f32_e32 v23, 0xbf7ee86f, v67
	v_add_f32_e32 v13, v14, v13
	v_fma_f32 v14, 0xbf7ba420, v62, -v122
	v_fmac_f32_e32 v102, 0x3f763a35, v64
	v_add_f32_e32 v12, v99, v12
	v_add_f32_e32 v20, v23, v20
	v_fmac_f32_e32 v127, 0xbf4c4adb, v66
	v_add_f32_e32 v13, v14, v13
	v_fma_f32 v14, 0xbe8c1d8e, v61, -v124
	v_add_f32_e32 v12, v102, v12
	v_fmac_f32_e32 v98, 0x3f2c7751, v69
	v_add_f32_e32 v20, v127, v20
	v_fmac_f32_e32 v22, 0xbe3c28d5, v64
	v_add_f32_e32 v13, v14, v13
	v_fma_f32 v14, 0x3f3d2fb0, v68, -v121
	v_add_f32_e32 v12, v98, v12
	v_fmac_f32_e32 v108, 0xbeb8f4ab, v72
	;; [unrolled: 6-line block ×3, first 2 shown]
	v_add_f32_e32 v20, v95, v20
	v_fmac_f32_e32 v129, 0x3f763a35, v72
	v_add_f32_e32 v13, v14, v13
	v_fma_f32 v14, 0x3dbcf732, v73, -v100
	v_fma_f32 v15, 0xbe8c1d8e, v75, -v119
	v_add_f32_e32 v12, v123, v12
	v_fmac_f32_e32 v125, 0xbf06c442, v76
	v_fma_f32 v22, 0xbf59a7d5, v75, -v96
	v_add_f32_e32 v14, v14, v13
	v_add_f32_e32 v20, v129, v20
	v_fmac_f32_e32 v33, 0x3f65296c, v74
	v_add_f32_e32 v10, v15, v10
	v_add_f32_e32 v13, v125, v12
	;; [unrolled: 1-line block ×3, first 2 shown]
	v_fma_f32 v14, 0x3f3d2fb0, v65, -v21
	v_add_f32_e32 v15, v33, v20
	v_fmac_f32_e32 v34, 0xbeb8f4ab, v70
	v_fma_f32 v20, 0x3f6eb680, v65, -v77
	v_fma_f32 v21, 0x3dbcf732, v63, -v29
	v_add_f32_e32 v14, v4, v14
	v_fmac_f32_e32 v35, 0xbf2c7751, v67
	v_add_f32_e32 v5, v5, v34
	v_add_f32_e32 v4, v4, v20
	v_fma_f32 v20, 0x3f3d2fb0, v63, -v81
	v_add_f32_e32 v14, v21, v14
	v_fma_f32 v21, 0xbf1a4643, v62, -v31
	v_add_f32_e32 v5, v35, v5
	v_fmac_f32_e32 v83, 0xbf65296c, v66
	v_add_f32_e32 v4, v20, v4
	v_fma_f32 v20, 0x3ee437d1, v62, -v80
	v_add_f32_e32 v14, v21, v14
	v_fma_f32 v21, 0xbf7ba420, v61, -v130
	v_add_f32_e32 v5, v83, v5
	v_fmac_f32_e32 v82, 0xbf7ee86f, v64
	;; [unrolled: 6-line block ×3, first 2 shown]
	v_add_f32_e32 v4, v20, v4
	v_fma_f32 v20, 0xbe8c1d8e, v68, -v84
	v_fmac_f32_e32 v141, 0x3f3d2fb0, v71
	v_add_f32_e32 v14, v21, v14
	v_fma_f32 v21, 0xbe8c1d8e, v71, -v30
	v_add_f32_e32 v5, v85, v5
	v_fmac_f32_e32 v88, 0xbf4c4adb, v72
	v_add_f32_e32 v4, v20, v4
	v_fma_f32 v20, 0xbf1a4643, v71, -v87
	v_add_f32_e32 v135, v141, v135
	;; [unrolled: 4-line block ×4, first 2 shown]
	v_fmac_f32_e32 v145, 0x3ee437d1, v75
	v_add_f32_e32 v9, v9, v43
	v_add_f32_e32 v8, v8, v42
	v_fmac_f32_e32 v28, 0x3eb8f4ab, v76
	v_add_f32_e32 v14, v21, v14
	v_fma_f32 v21, 0x3f6eb680, v75, -v24
	v_add_f32_e32 v22, v91, v5
	v_fmac_f32_e32 v78, 0xbe3c28d5, v76
	v_add_f32_e32 v20, v20, v4
	v_fma_f32 v23, 0xbf7ba420, v75, -v90
	v_lshl_add_u32 v24, v38, 7, v58
	v_add_f32_e32 v52, v145, v135
	v_add_f32_e32 v5, v28, v15
	;; [unrolled: 1-line block ×5, first 2 shown]
	ds_write2_b64 v24, v[8:9], v[18:19] offset1:1
	ds_write2_b64 v24, v[16:17], v[6:7] offset0:2 offset1:3
	ds_write2_b64 v24, v[56:57], v[54:55] offset0:4 offset1:5
	ds_write2_b64 v24, v[52:53], v[50:51] offset0:6 offset1:7
	ds_write2_b64 v24, v[48:49], v[46:47] offset0:8 offset1:9
	ds_write2_b64 v24, v[10:11], v[44:45] offset0:10 offset1:11
	ds_write2_b64 v24, v[0:1], v[2:3] offset0:12 offset1:13
	ds_write2_b64 v24, v[12:13], v[4:5] offset0:14 offset1:15
	ds_write_b64 v24, v[14:15] offset:128
.LBB0_15:
	s_or_b32 exec_lo, exec_lo, s1
	v_and_b32_e32 v4, 0xff, v38
	v_add_nc_u32_e32 v6, 0x1dc, v38
	v_add_nc_u16 v28, v38, 0x77
	v_mov_b32_e32 v7, 0xf0f1
	v_add_nc_u32_e32 v8, 0x253, v38
	v_mul_lo_u16 v31, 0xf1, v4
	v_add_nc_u32_e32 v4, 0xee, v38
	v_and_b32_e32 v9, 0xff, v28
	v_mul_u32_u24_sdwa v11, v6, v7 dst_sel:DWORD dst_unused:UNUSED_PAD src0_sel:WORD_0 src1_sel:DWORD
	v_add_nc_u32_e32 v5, 0x165, v38
	v_lshrrev_b16 v50, 12, v31
	v_mul_u32_u24_sdwa v13, v8, v7 dst_sel:DWORD dst_unused:UNUSED_PAD src0_sel:WORD_0 src1_sel:DWORD
	v_mul_lo_u16 v29, 0xf1, v9
	v_lshrrev_b32_e32 v51, 20, v11
	v_mul_u32_u24_sdwa v12, v4, v7 dst_sel:DWORD dst_unused:UNUSED_PAD src0_sel:WORD_0 src1_sel:DWORD
	v_mul_lo_u16 v10, v50, 17
	v_mov_b32_e32 v30, 3
	v_mul_u32_u24_sdwa v7, v5, v7 dst_sel:DWORD dst_unused:UNUSED_PAD src0_sel:WORD_0 src1_sel:DWORD
	v_lshrrev_b32_e32 v52, 20, v13
	v_mul_lo_u16 v9, v51, 17
	v_sub_nc_u16 v10, v38, v10
	v_lshrrev_b16 v55, 12, v29
	v_lshrrev_b32_e32 v53, 20, v12
	v_lshrrev_b32_e32 v56, 20, v7
	v_sub_nc_u16 v6, v6, v9
	v_lshlrev_b32_sdwa v54, v30, v10 dst_sel:DWORD dst_unused:UNUSED_PAD src0_sel:DWORD src1_sel:BYTE_0
	v_mul_lo_u16 v10, v52, 17
	v_mul_lo_u16 v7, v55, 17
	;; [unrolled: 1-line block ×3, first 2 shown]
	v_lshlrev_b32_sdwa v57, v30, v6 dst_sel:DWORD dst_unused:UNUSED_PAD src0_sel:DWORD src1_sel:WORD_0
	s_load_dwordx2 s[2:3], s[2:3], 0x0
	v_sub_nc_u16 v8, v8, v10
	v_mul_lo_u16 v10, v56, 17
	v_sub_nc_u16 v6, v28, v7
	v_sub_nc_u16 v4, v4, v9
	s_waitcnt lgkmcnt(0)
	s_barrier
	v_sub_nc_u16 v5, v5, v10
	buffer_gl0_inv
	s_clause 0x1
	global_load_dwordx2 v[24:25], v54, s[12:13]
	global_load_dwordx2 v[26:27], v57, s[12:13]
	v_lshlrev_b32_sdwa v61, v30, v8 dst_sel:DWORD dst_unused:UNUSED_PAD src0_sel:DWORD src1_sel:WORD_0
	v_lshlrev_b32_sdwa v62, v30, v6 dst_sel:DWORD dst_unused:UNUSED_PAD src0_sel:DWORD src1_sel:BYTE_0
	v_lshlrev_b32_sdwa v63, v30, v4 dst_sel:DWORD dst_unused:UNUSED_PAD src0_sel:DWORD src1_sel:WORD_0
	v_lshlrev_b32_sdwa v64, v30, v5 dst_sel:DWORD dst_unused:UNUSED_PAD src0_sel:DWORD src1_sel:WORD_0
	v_add_nc_u32_e32 v4, 0x1400, v58
	s_clause 0x3
	global_load_dwordx2 v[42:43], v61, s[12:13]
	global_load_dwordx2 v[44:45], v62, s[12:13]
	;; [unrolled: 1-line block ×4, first 2 shown]
	v_add_nc_u32_e32 v16, 0x2400, v58
	v_add_nc_u32_e32 v32, 0x400, v58
	ds_read2_b64 v[12:15], v58 offset1:119
	ds_read2_b64 v[4:7], v4 offset0:74 offset1:193
	ds_read2_b64 v[8:11], v59 offset0:56 offset1:175
	;; [unrolled: 1-line block ×5, first 2 shown]
	v_mov_b32_e32 v65, 0x110
	v_mul_u32_u24_e32 v56, 0x110, v56
	v_mul_u32_u24_e32 v51, 0x110, v51
	;; [unrolled: 1-line block ×4, first 2 shown]
	v_mul_u32_u24_sdwa v50, v50, v65 dst_sel:DWORD dst_unused:UNUSED_PAD src0_sel:WORD_0 src1_sel:DWORD
	v_mul_u32_u24_sdwa v55, v55, v65 dst_sel:DWORD dst_unused:UNUSED_PAD src0_sel:WORD_0 src1_sel:DWORD
	v_add3_u32 v51, 0, v51, v57
	v_add3_u32 v53, 0, v53, v63
	;; [unrolled: 1-line block ×6, first 2 shown]
	s_waitcnt vmcnt(0) lgkmcnt(0)
	s_barrier
	buffer_gl0_inv
	v_cmp_gt_u32_e64 s0, 0x55, v38
	v_mul_f32_e32 v56, v25, v5
	v_mul_f32_e32 v25, v25, v4
	;; [unrolled: 1-line block ×4, first 2 shown]
	v_fmac_f32_e32 v56, v24, v4
	v_fma_f32 v4, v24, v5, -v25
	v_mul_f32_e32 v59, v19, v43
	v_mul_f32_e32 v43, v18, v43
	;; [unrolled: 1-line block ×8, first 2 shown]
	v_fmac_f32_e32 v59, v18, v42
	v_fma_f32 v18, v19, v42, -v43
	v_fmac_f32_e32 v5, v44, v6
	v_fma_f32 v6, v44, v7, -v24
	v_fmac_f32_e32 v57, v26, v16
	v_fma_f32 v26, v26, v17, -v27
	v_fmac_f32_e32 v45, v46, v8
	v_fma_f32 v7, v46, v9, -v25
	v_fmac_f32_e32 v47, v48, v10
	v_fma_f32 v8, v48, v11, -v49
	v_sub_f32_e32 v16, v12, v56
	v_sub_f32_e32 v17, v13, v4
	v_sub_f32_e32 v11, v23, v18
	v_sub_f32_e32 v18, v14, v5
	v_sub_f32_e32 v19, v15, v6
	v_sub_f32_e32 v24, v20, v57
	v_sub_f32_e32 v25, v21, v26
	v_sub_f32_e32 v26, v32, v45
	v_sub_f32_e32 v27, v33, v7
	v_sub_f32_e32 v4, v34, v47
	v_sub_f32_e32 v5, v35, v8
	v_sub_f32_e32 v10, v22, v59
	v_fma_f32 v12, v12, 2.0, -v16
	v_fma_f32 v13, v13, 2.0, -v17
	;; [unrolled: 1-line block ×12, first 2 shown]
	ds_write2_b64 v50, v[12:13], v[16:17] offset1:17
	ds_write2_b64 v55, v[14:15], v[18:19] offset1:17
	;; [unrolled: 1-line block ×6, first 2 shown]
	s_waitcnt lgkmcnt(0)
	s_barrier
	buffer_gl0_inv
	ds_read2_b64 v[12:15], v58 offset1:204
	ds_read2_b64 v[20:23], v39 offset0:24 offset1:228
	ds_read2_b64 v[16:19], v60 offset0:48 offset1:252
	ds_read_b64 v[26:27], v58 offset:9792
	s_and_saveexec_b32 s1, s0
	s_cbranch_execz .LBB0_17
; %bb.16:
	v_add_nc_u32_e32 v0, 0x300, v58
	v_add_nc_u32_e32 v1, 0x1000, v58
	;; [unrolled: 1-line block ×4, first 2 shown]
	ds_read2_b64 v[4:7], v0 offset0:23 offset1:227
	ds_read2_b32 v[24:25], v1 offset0:30 offset1:31
	ds_read2_b64 v[8:11], v2 offset0:27 offset1:231
	ds_read2_b64 v[0:3], v3 offset0:51 offset1:255
.LBB0_17:
	s_or_b32 exec_lo, exec_lo, s1
	v_lshrrev_b16 v33, 13, v31
	v_mov_b32_e32 v31, 6
	v_mul_lo_u16 v32, v33, 34
	v_sub_nc_u16 v34, v38, v32
	v_mul_u32_u24_sdwa v32, v34, v31 dst_sel:DWORD dst_unused:UNUSED_PAD src0_sel:BYTE_0 src1_sel:DWORD
	v_lshlrev_b32_sdwa v30, v30, v34 dst_sel:DWORD dst_unused:UNUSED_PAD src0_sel:DWORD src1_sel:BYTE_0
	v_lshlrev_b32_e32 v32, 3, v32
	s_clause 0x2
	global_load_dwordx4 v[42:45], v32, s[12:13] offset:136
	global_load_dwordx4 v[46:49], v32, s[12:13] offset:152
	;; [unrolled: 1-line block ×3, first 2 shown]
	v_mov_b32_e32 v32, 0x770
	s_waitcnt vmcnt(0) lgkmcnt(0)
	s_barrier
	buffer_gl0_inv
	v_mul_u32_u24_sdwa v33, v33, v32 dst_sel:DWORD dst_unused:UNUSED_PAD src0_sel:WORD_0 src1_sel:DWORD
	v_add3_u32 v30, 0, v33, v30
	v_mul_f32_e32 v33, v43, v15
	v_mul_f32_e32 v34, v43, v14
	;; [unrolled: 1-line block ×12, first 2 shown]
	v_fmac_f32_e32 v33, v42, v14
	v_fma_f32 v14, v42, v15, -v34
	v_fmac_f32_e32 v35, v44, v20
	v_fma_f32 v15, v44, v21, -v39
	v_fmac_f32_e32 v47, v48, v16
	v_fmac_f32_e32 v55, v52, v26
	v_fma_f32 v16, v52, v27, -v53
	v_fmac_f32_e32 v54, v50, v18
	v_fma_f32 v18, v50, v19, -v51
	;; [unrolled: 2-line block ×3, first 2 shown]
	v_fma_f32 v17, v48, v17, -v49
	v_add_f32_e32 v19, v33, v55
	v_add_f32_e32 v21, v14, v16
	v_sub_f32_e32 v14, v14, v16
	v_add_f32_e32 v16, v35, v54
	v_add_f32_e32 v23, v15, v18
	v_sub_f32_e32 v22, v33, v55
	v_sub_f32_e32 v26, v35, v54
	;; [unrolled: 1-line block ×3, first 2 shown]
	v_add_f32_e32 v18, v43, v47
	v_add_f32_e32 v27, v20, v17
	v_sub_f32_e32 v33, v47, v43
	v_sub_f32_e32 v17, v17, v20
	v_add_f32_e32 v20, v16, v19
	v_add_f32_e32 v34, v23, v21
	v_sub_f32_e32 v35, v16, v19
	v_sub_f32_e32 v39, v23, v21
	;; [unrolled: 1-line block ×6, first 2 shown]
	v_add_f32_e32 v42, v33, v26
	v_add_f32_e32 v43, v17, v15
	v_sub_f32_e32 v44, v33, v26
	v_sub_f32_e32 v45, v17, v15
	v_sub_f32_e32 v15, v15, v14
	v_add_f32_e32 v18, v18, v20
	v_add_f32_e32 v20, v27, v34
	v_sub_f32_e32 v26, v26, v22
	v_sub_f32_e32 v33, v22, v33
	;; [unrolled: 1-line block ×3, first 2 shown]
	v_add_f32_e32 v22, v42, v22
	v_add_f32_e32 v14, v43, v14
	v_mul_f32_e32 v19, 0x3f4a47b2, v19
	v_mul_f32_e32 v21, 0x3f4a47b2, v21
	;; [unrolled: 1-line block ×7, first 2 shown]
	v_add_f32_e32 v12, v18, v12
	v_add_f32_e32 v13, v20, v13
	v_mul_f32_e32 v44, 0xbf5ff5aa, v26
	v_fmamk_f32 v16, v16, 0x3d64c772, v19
	v_fmamk_f32 v23, v23, 0x3d64c772, v21
	v_fma_f32 v27, 0x3f3bfb3b, v35, -v27
	v_fma_f32 v34, 0x3f3bfb3b, v39, -v34
	;; [unrolled: 1-line block ×4, first 2 shown]
	v_fmamk_f32 v35, v33, 0xbeae86e6, v42
	v_fmamk_f32 v39, v17, 0xbeae86e6, v43
	v_fma_f32 v26, 0xbf5ff5aa, v26, -v42
	v_fma_f32 v42, 0xbf5ff5aa, v15, -v43
	;; [unrolled: 1-line block ×3, first 2 shown]
	v_fmamk_f32 v15, v18, 0xbf955555, v12
	v_fmamk_f32 v17, v20, 0xbf955555, v13
	v_fma_f32 v33, 0x3eae86e6, v33, -v44
	v_fmac_f32_e32 v35, 0xbee1c552, v22
	v_fmac_f32_e32 v39, 0xbee1c552, v14
	v_add_f32_e32 v44, v16, v15
	v_add_f32_e32 v45, v23, v17
	v_fmac_f32_e32 v26, 0xbee1c552, v22
	v_fmac_f32_e32 v42, 0xbee1c552, v14
	;; [unrolled: 1-line block ×4, first 2 shown]
	v_add_f32_e32 v20, v27, v15
	v_add_f32_e32 v22, v19, v15
	;; [unrolled: 1-line block ×5, first 2 shown]
	v_sub_f32_e32 v15, v45, v35
	v_add_f32_e32 v16, v43, v22
	v_sub_f32_e32 v17, v23, v33
	v_sub_f32_e32 v18, v20, v42
	v_add_f32_e32 v19, v26, v21
	v_add_f32_e32 v20, v42, v20
	v_sub_f32_e32 v21, v21, v26
	v_sub_f32_e32 v22, v22, v43
	v_add_f32_e32 v23, v33, v23
	v_sub_f32_e32 v26, v44, v39
	v_add_f32_e32 v27, v35, v45
	ds_write2_b64 v30, v[12:13], v[14:15] offset1:34
	ds_write2_b64 v30, v[16:17], v[18:19] offset0:68 offset1:102
	ds_write2_b64 v30, v[20:21], v[22:23] offset0:136 offset1:170
	ds_write_b64 v30, v[26:27] offset:1632
	s_and_saveexec_b32 s1, s0
	s_cbranch_execz .LBB0_19
; %bb.18:
	v_lshrrev_b16 v26, 13, v29
	v_mul_lo_u16 v12, v26, 34
	v_mul_u32_u24_sdwa v26, v26, v32 dst_sel:DWORD dst_unused:UNUSED_PAD src0_sel:WORD_0 src1_sel:DWORD
	v_sub_nc_u16 v27, v28, v12
	v_mov_b32_e32 v28, 3
	v_mul_u32_u24_sdwa v12, v27, v31 dst_sel:DWORD dst_unused:UNUSED_PAD src0_sel:BYTE_0 src1_sel:DWORD
	v_lshlrev_b32_sdwa v27, v28, v27 dst_sel:DWORD dst_unused:UNUSED_PAD src0_sel:DWORD src1_sel:BYTE_0
	v_lshlrev_b32_e32 v20, 3, v12
	v_add3_u32 v26, 0, v26, v27
	s_clause 0x2
	global_load_dwordx4 v[12:15], v20, s[12:13] offset:136
	global_load_dwordx4 v[16:19], v20, s[12:13] offset:168
	;; [unrolled: 1-line block ×3, first 2 shown]
	s_waitcnt vmcnt(2)
	v_mul_f32_e32 v27, v7, v13
	s_waitcnt vmcnt(1)
	v_mul_f32_e32 v28, v3, v19
	v_mul_f32_e32 v31, v25, v15
	;; [unrolled: 1-line block ×7, first 2 shown]
	s_waitcnt vmcnt(0)
	v_mul_f32_e32 v29, v11, v23
	v_mul_f32_e32 v30, v9, v21
	;; [unrolled: 1-line block ×4, first 2 shown]
	v_fmac_f32_e32 v27, v6, v12
	v_fmac_f32_e32 v28, v2, v18
	;; [unrolled: 1-line block ×4, first 2 shown]
	v_fma_f32 v0, v3, v18, -v19
	v_fma_f32 v2, v7, v12, -v13
	;; [unrolled: 1-line block ×4, first 2 shown]
	v_fmac_f32_e32 v29, v10, v22
	v_fmac_f32_e32 v30, v8, v20
	v_fma_f32 v3, v9, v20, -v21
	v_fma_f32 v6, v11, v22, -v23
	v_add_f32_e32 v11, v2, v0
	v_add_f32_e32 v13, v7, v1
	v_add_f32_e32 v14, v27, v28
	v_add_f32_e32 v16, v31, v32
	v_sub_f32_e32 v8, v27, v28
	v_sub_f32_e32 v9, v29, v30
	;; [unrolled: 1-line block ×3, first 2 shown]
	v_add_f32_e32 v12, v3, v6
	v_add_f32_e32 v15, v30, v29
	v_sub_f32_e32 v0, v2, v0
	v_sub_f32_e32 v2, v6, v3
	;; [unrolled: 1-line block ×3, first 2 shown]
	v_add_f32_e32 v18, v13, v11
	v_add_f32_e32 v21, v16, v14
	v_sub_f32_e32 v3, v8, v9
	v_sub_f32_e32 v6, v9, v10
	v_add_f32_e32 v7, v9, v10
	v_sub_f32_e32 v9, v11, v12
	v_sub_f32_e32 v17, v12, v13
	;; [unrolled: 1-line block ×6, first 2 shown]
	v_add_f32_e32 v2, v2, v1
	v_sub_f32_e32 v10, v10, v8
	v_sub_f32_e32 v11, v13, v11
	;; [unrolled: 1-line block ×4, first 2 shown]
	v_add_f32_e32 v12, v12, v18
	v_add_f32_e32 v15, v15, v21
	v_mul_f32_e32 v6, 0x3f08b237, v6
	v_add_f32_e32 v7, v7, v8
	v_mul_f32_e32 v8, 0x3f4a47b2, v9
	v_mul_f32_e32 v9, 0x3d64c772, v17
	;; [unrolled: 1-line block ×4, first 2 shown]
	v_add_f32_e32 v2, v2, v0
	v_mul_f32_e32 v21, 0xbf5ff5aa, v10
	v_mul_f32_e32 v23, 0xbf5ff5aa, v14
	v_add_f32_e32 v1, v5, v12
	v_add_f32_e32 v0, v4, v15
	v_mul_f32_e32 v18, 0x3d64c772, v20
	v_fmamk_f32 v24, v3, 0xbeae86e6, v6
	v_fmamk_f32 v17, v17, 0x3d64c772, v8
	;; [unrolled: 1-line block ×4, first 2 shown]
	v_fma_f32 v21, 0x3eae86e6, v3, -v21
	v_fma_f32 v3, 0xbf3bfb3b, v11, -v8
	;; [unrolled: 1-line block ×7, first 2 shown]
	v_fmamk_f32 v10, v12, 0xbf955555, v1
	v_fmamk_f32 v11, v15, 0xbf955555, v0
	v_fma_f32 v9, 0x3f3bfb3b, v13, -v18
	v_fmac_f32_e32 v24, 0xbee1c552, v7
	v_fmac_f32_e32 v20, 0xbee1c552, v2
	;; [unrolled: 1-line block ×5, first 2 shown]
	v_add_f32_e32 v2, v17, v10
	v_add_f32_e32 v15, v5, v11
	;; [unrolled: 1-line block ×3, first 2 shown]
	v_fmac_f32_e32 v6, 0xbee1c552, v7
	v_add_f32_e32 v17, v4, v11
	v_add_f32_e32 v8, v8, v10
	;; [unrolled: 1-line block ×4, first 2 shown]
	v_sub_f32_e32 v11, v12, v21
	v_sub_f32_e32 v13, v2, v24
	v_add_f32_e32 v12, v20, v15
	v_sub_f32_e32 v7, v8, v6
	v_add_f32_e32 v9, v6, v8
	;; [unrolled: 2-line block ×4, first 2 shown]
	v_add_f32_e32 v3, v24, v2
	v_sub_f32_e32 v2, v15, v20
	ds_write2_b64 v26, v[0:1], v[12:13] offset1:34
	ds_write2_b64 v26, v[10:11], v[8:9] offset0:68 offset1:102
	ds_write2_b64 v26, v[6:7], v[4:5] offset0:136 offset1:170
	ds_write_b64 v26, v[2:3] offset:1632
.LBB0_19:
	s_or_b32 exec_lo, exec_lo, s1
	v_mul_u32_u24_e32 v0, 5, v38
	s_waitcnt lgkmcnt(0)
	s_barrier
	buffer_gl0_inv
	v_add_nc_u32_e32 v39, 0x400, v58
	v_lshlrev_b32_e32 v8, 3, v0
	v_add_nc_u32_e32 v50, 0xc00, v58
	v_add_nc_u32_e32 v51, 0x1400, v58
	;; [unrolled: 1-line block ×4, first 2 shown]
	v_add_co_u32 v10, s0, s12, v8
	v_add_co_ci_u32_e64 v11, null, s13, 0, s0
	s_clause 0x2
	global_load_dwordx4 v[0:3], v8, s[12:13] offset:1768
	global_load_dwordx4 v[4:7], v8, s[12:13] offset:1784
	global_load_dwordx2 v[46:47], v8, s[12:13] offset:1800
	v_add_co_u32 v8, s0, 0x1800, v10
	v_add_co_ci_u32_e64 v9, s0, 0, v11, s0
	v_add_co_u32 v16, s0, 0x1980, v10
	v_add_co_ci_u32_e64 v17, s0, 0, v11, s0
	s_add_u32 s1, s12, 0x2c18
	s_clause 0x2
	global_load_dwordx4 v[8:11], v[8:9], off offset:384
	global_load_dwordx4 v[12:15], v[16:17], off offset:16
	global_load_dwordx2 v[48:49], v[16:17], off offset:32
	ds_read2_b64 v[16:19], v39 offset0:110 offset1:229
	ds_read2_b64 v[20:23], v50 offset0:92 offset1:211
	;; [unrolled: 1-line block ×5, first 2 shown]
	ds_read2_b64 v[42:45], v58 offset1:119
	s_waitcnt vmcnt(0) lgkmcnt(0)
	s_barrier
	buffer_gl0_inv
	s_addc_u32 s4, s13, 0
	s_mov_b32 s5, exec_lo
	v_mul_f32_e32 v54, v1, v17
	v_mul_f32_e32 v1, v1, v16
	;; [unrolled: 1-line block ×10, first 2 shown]
	v_fmac_f32_e32 v54, v0, v16
	v_fma_f32 v16, v0, v17, -v1
	v_fma_f32 v0, v2, v21, -v3
	;; [unrolled: 1-line block ×4, first 2 shown]
	v_fmac_f32_e32 v55, v2, v20
	v_fmac_f32_e32 v56, v4, v24
	;; [unrolled: 1-line block ×3, first 2 shown]
	v_fma_f32 v2, v6, v29, -v7
	v_fmac_f32_e32 v59, v46, v32
	v_mul_f32_e32 v17, v19, v9
	v_mul_f32_e32 v4, v18, v9
	;; [unrolled: 1-line block ×5, first 2 shown]
	v_sub_f32_e32 v46, v1, v3
	v_add_f32_e32 v47, v16, v1
	v_add_f32_e32 v1, v1, v3
	v_mul_f32_e32 v5, v23, v11
	v_mul_f32_e32 v7, v27, v13
	;; [unrolled: 1-line block ×5, first 2 shown]
	v_add_f32_e32 v21, v42, v55
	v_add_f32_e32 v24, v55, v57
	v_sub_f32_e32 v25, v0, v2
	v_add_f32_e32 v28, v43, v0
	v_add_f32_e32 v0, v0, v2
	;; [unrolled: 1-line block ×4, first 2 shown]
	v_sub_f32_e32 v49, v56, v59
	v_fmac_f32_e32 v17, v18, v8
	v_fma_f32 v18, v19, v8, -v4
	v_fma_f32 v4, v23, v10, -v6
	;; [unrolled: 1-line block ×4, first 2 shown]
	v_fmac_f32_e32 v16, -0.5, v1
	v_sub_f32_e32 v29, v55, v57
	v_fmac_f32_e32 v5, v22, v10
	v_fmac_f32_e32 v7, v26, v12
	;; [unrolled: 1-line block ×3, first 2 shown]
	v_fma_f32 v8, v31, v14, -v13
	v_fmac_f32_e32 v15, v34, v48
	v_add_f32_e32 v10, v21, v57
	v_fma_f32 v13, -0.5, v24, v42
	v_add_f32_e32 v12, v28, v2
	v_fma_f32 v19, -0.5, v0, v43
	v_add_f32_e32 v2, v32, v59
	v_fmac_f32_e32 v54, -0.5, v33
	v_add_f32_e32 v3, v47, v3
	v_fmamk_f32 v22, v49, 0x3f5db3d7, v16
	v_fmac_f32_e32 v16, 0xbf5db3d7, v49
	v_sub_f32_e32 v27, v6, v9
	v_add_f32_e32 v28, v18, v6
	v_add_f32_e32 v6, v6, v9
	v_fmamk_f32 v14, v25, 0xbf5db3d7, v13
	v_fmac_f32_e32 v13, 0x3f5db3d7, v25
	v_fmamk_f32 v20, v29, 0x3f5db3d7, v19
	v_fmac_f32_e32 v19, 0xbf5db3d7, v29
	;; [unrolled: 2-line block ×3, first 2 shown]
	v_add_f32_e32 v0, v10, v2
	v_add_f32_e32 v1, v12, v3
	v_sub_f32_e32 v2, v10, v2
	v_sub_f32_e32 v3, v12, v3
	v_add_f32_e32 v10, v44, v5
	v_add_f32_e32 v12, v5, v11
	v_sub_f32_e32 v23, v4, v8
	v_add_f32_e32 v24, v45, v4
	v_add_f32_e32 v4, v4, v8
	;; [unrolled: 1-line block ×4, first 2 shown]
	v_sub_f32_e32 v7, v7, v15
	v_mul_f32_e32 v29, 0xbf5db3d7, v22
	v_mul_f32_e32 v30, 0xbf5db3d7, v16
	v_mul_f32_e32 v22, 0.5, v22
	v_fmac_f32_e32 v18, -0.5, v6
	v_sub_f32_e32 v5, v5, v11
	v_add_f32_e32 v10, v10, v11
	v_fma_f32 v31, -0.5, v12, v44
	v_add_f32_e32 v8, v24, v8
	v_fmac_f32_e32 v45, -0.5, v4
	v_add_f32_e32 v11, v25, v15
	v_fmac_f32_e32 v17, -0.5, v26
	v_add_f32_e32 v9, v28, v9
	v_fmac_f32_e32 v29, 0.5, v21
	v_fmac_f32_e32 v30, -0.5, v54
	v_fmac_f32_e32 v22, 0x3f5db3d7, v21
	v_fmamk_f32 v15, v7, 0x3f5db3d7, v18
	v_fmac_f32_e32 v18, 0xbf5db3d7, v7
	v_fmamk_f32 v21, v23, 0xbf5db3d7, v31
	v_fmac_f32_e32 v31, 0x3f5db3d7, v23
	v_fmamk_f32 v23, v5, 0x3f5db3d7, v45
	v_fmac_f32_e32 v45, 0xbf5db3d7, v5
	v_fmamk_f32 v24, v27, 0xbf5db3d7, v17
	v_add_f32_e32 v4, v10, v11
	v_add_f32_e32 v5, v8, v9
	v_sub_f32_e32 v6, v10, v11
	v_sub_f32_e32 v7, v8, v9
	v_add_f32_e32 v8, v14, v29
	v_add_f32_e32 v10, v13, v30
	;; [unrolled: 1-line block ×3, first 2 shown]
	v_sub_f32_e32 v12, v14, v29
	v_sub_f32_e32 v14, v13, v30
	;; [unrolled: 1-line block ×3, first 2 shown]
	v_mul_f32_e32 v20, 0xbf5db3d7, v15
	v_mul_f32_e32 v25, 0.5, v15
	v_mul_f32_e32 v16, -0.5, v16
	v_fmac_f32_e32 v17, 0x3f5db3d7, v27
	v_mul_f32_e32 v22, 0xbf5db3d7, v18
	v_mul_f32_e32 v26, -0.5, v18
	v_fmac_f32_e32 v20, 0.5, v24
	v_fmac_f32_e32 v25, 0x3f5db3d7, v24
	v_fmac_f32_e32 v16, 0x3f5db3d7, v54
	v_fmac_f32_e32 v22, -0.5, v17
	v_fmac_f32_e32 v26, 0x3f5db3d7, v17
	ds_write2_b64 v58, v[0:1], v[4:5] offset1:119
	v_add_f32_e32 v0, v21, v20
	v_add_f32_e32 v1, v23, v25
	;; [unrolled: 1-line block ×5, first 2 shown]
	v_sub_f32_e32 v15, v19, v16
	v_sub_f32_e32 v16, v21, v20
	;; [unrolled: 1-line block ×5, first 2 shown]
	ds_write2_b64 v51, v[2:3], v[6:7] offset0:74 offset1:193
	ds_write2_b64 v39, v[8:9], v[0:1] offset0:110 offset1:229
	ds_write2_b64 v50, v[10:11], v[4:5] offset0:92 offset1:211
	ds_write2_b64 v52, v[12:13], v[16:17] offset0:56 offset1:175
	ds_write2_b64 v53, v[14:15], v[18:19] offset0:38 offset1:157
	s_waitcnt lgkmcnt(0)
	s_barrier
	buffer_gl0_inv
	ds_read_b64 v[2:3], v58
	v_lshlrev_b32_e32 v0, 3, v38
	v_mov_b32_e32 v39, 0
                                        ; implicit-def: $vgpr7
                                        ; implicit-def: $vgpr8
                                        ; implicit-def: $vgpr4_vgpr5
	v_sub_nc_u32_e32 v6, 0, v0
                                        ; implicit-def: $vgpr0
	v_cmpx_ne_u32_e32 0, v38
	s_xor_b32 s5, exec_lo, s5
	s_cbranch_execz .LBB0_21
; %bb.20:
	v_lshlrev_b64 v[0:1], 3, v[38:39]
	ds_read_b64 v[4:5], v6 offset:11424
	v_add_co_u32 v0, s0, s1, v0
	v_add_co_ci_u32_e64 v1, s0, s4, v1, s0
	global_load_dwordx2 v[0:1], v[0:1], off
	s_waitcnt lgkmcnt(0)
	v_sub_f32_e32 v7, v2, v4
	v_add_f32_e32 v8, v5, v3
	v_sub_f32_e32 v3, v3, v5
	v_add_f32_e32 v2, v4, v2
	v_mul_f32_e32 v5, 0.5, v7
	v_mul_f32_e32 v9, 0.5, v8
	;; [unrolled: 1-line block ×3, first 2 shown]
	s_waitcnt vmcnt(0)
	v_mul_f32_e32 v4, v1, v5
	v_fma_f32 v8, v9, v1, v3
	v_fma_f32 v1, v9, v1, -v3
	v_fma_f32 v7, 0.5, v2, v4
	v_fma_f32 v2, v2, 0.5, -v4
	v_fma_f32 v8, -v0, v5, v8
	v_fma_f32 v1, -v0, v5, v1
	v_mov_b32_e32 v4, v38
	v_fmac_f32_e32 v7, v0, v9
	v_fma_f32 v0, -v0, v9, v2
	v_mov_b32_e32 v5, v39
                                        ; implicit-def: $vgpr2_vgpr3
.LBB0_21:
	s_andn2_saveexec_b32 s0, s5
	s_cbranch_execz .LBB0_23
; %bb.22:
	v_mov_b32_e32 v8, 0
	v_mov_b32_e32 v4, 0
	s_waitcnt lgkmcnt(0)
	v_add_f32_e32 v7, v2, v3
	v_sub_f32_e32 v0, v2, v3
	v_mov_b32_e32 v5, 0
	ds_read_b32 v1, v8 offset:5716
	s_waitcnt lgkmcnt(0)
	v_xor_b32_e32 v2, 0x80000000, v1
	v_mov_b32_e32 v1, 0
	ds_write_b32 v8, v2 offset:5716
.LBB0_23:
	s_or_b32 exec_lo, exec_lo, s0
	s_waitcnt lgkmcnt(0)
	v_lshlrev_b64 v[2:3], 3, v[4:5]
	v_add_co_u32 v2, s0, s1, v2
	v_add_co_ci_u32_e64 v3, s0, s4, v3, s0
	s_clause 0x1
	global_load_dwordx2 v[4:5], v[2:3], off offset:952
	global_load_dwordx2 v[9:10], v[2:3], off offset:1904
	v_add_co_u32 v11, s0, 0x800, v2
	v_add_co_ci_u32_e64 v12, s0, 0, v3, s0
	s_clause 0x1
	global_load_dwordx2 v[13:14], v[11:12], off offset:808
	global_load_dwordx2 v[11:12], v[11:12], off offset:1760
	v_add_co_u32 v2, s0, 0x1000, v2
	v_add_co_ci_u32_e64 v3, s0, 0, v3, s0
	global_load_dwordx2 v[2:3], v[2:3], off offset:664
	ds_write2_b32 v58, v7, v8 offset1:1
	ds_write_b64 v6, v[0:1] offset:11424
	ds_read_b64 v[0:1], v58 offset:952
	ds_read_b64 v[7:8], v6 offset:10472
	s_waitcnt lgkmcnt(0)
	v_sub_f32_e32 v15, v0, v7
	v_add_f32_e32 v16, v1, v8
	v_sub_f32_e32 v1, v1, v8
	v_add_f32_e32 v0, v0, v7
	v_mul_f32_e32 v8, 0.5, v15
	v_mul_f32_e32 v15, 0.5, v16
	;; [unrolled: 1-line block ×3, first 2 shown]
	s_waitcnt vmcnt(4)
	v_mul_f32_e32 v7, v5, v8
	v_fma_f32 v16, v15, v5, v1
	v_fma_f32 v1, v15, v5, -v1
	v_fma_f32 v5, 0.5, v0, v7
	v_fma_f32 v0, v0, 0.5, -v7
	v_fma_f32 v7, -v4, v8, v16
	v_fma_f32 v1, -v4, v8, v1
	v_fmac_f32_e32 v5, v4, v15
	v_fma_f32 v0, -v4, v15, v0
	ds_write2_b32 v58, v5, v7 offset0:238 offset1:239
	ds_write_b64 v6, v[0:1] offset:10472
	ds_read_b64 v[0:1], v58 offset:1904
	ds_read_b64 v[4:5], v6 offset:9520
	s_waitcnt lgkmcnt(0)
	v_sub_f32_e32 v7, v0, v4
	v_add_f32_e32 v8, v1, v5
	v_sub_f32_e32 v1, v1, v5
	v_add_f32_e32 v0, v0, v4
	v_mul_f32_e32 v5, 0.5, v7
	v_mul_f32_e32 v7, 0.5, v8
	v_mul_f32_e32 v1, 0.5, v1
	s_waitcnt vmcnt(3)
	v_mul_f32_e32 v4, v10, v5
	v_fma_f32 v8, v7, v10, v1
	v_fma_f32 v1, v7, v10, -v1
	v_fma_f32 v10, 0.5, v0, v4
	v_fma_f32 v0, v0, 0.5, -v4
	v_add_nc_u32_e32 v4, 0x400, v58
	v_fma_f32 v8, -v9, v5, v8
	v_fma_f32 v1, -v9, v5, v1
	v_fmac_f32_e32 v10, v9, v7
	v_fma_f32 v0, -v9, v7, v0
	ds_write2_b32 v4, v10, v8 offset0:220 offset1:221
	ds_write_b64 v6, v[0:1] offset:9520
	ds_read_b64 v[0:1], v58 offset:2856
	ds_read_b64 v[4:5], v6 offset:8568
	s_waitcnt lgkmcnt(0)
	v_sub_f32_e32 v7, v0, v4
	v_add_f32_e32 v8, v1, v5
	v_sub_f32_e32 v1, v1, v5
	v_add_f32_e32 v0, v0, v4
	v_mul_f32_e32 v5, 0.5, v7
	v_mul_f32_e32 v7, 0.5, v8
	v_mul_f32_e32 v1, 0.5, v1
	s_waitcnt vmcnt(2)
	v_mul_f32_e32 v4, v14, v5
	v_fma_f32 v8, v7, v14, v1
	v_fma_f32 v1, v7, v14, -v1
	v_fma_f32 v9, 0.5, v0, v4
	v_fma_f32 v0, v0, 0.5, -v4
	v_add_nc_u32_e32 v4, 0x800, v58
	;; [unrolled: 23-line block ×4, first 2 shown]
	v_fma_f32 v8, -v2, v5, v8
	v_fma_f32 v1, -v2, v5, v1
	v_fmac_f32_e32 v3, v2, v7
	v_fma_f32 v0, -v2, v7, v0
	ds_write2_b32 v4, v3, v8 offset0:166 offset1:167
	ds_write_b64 v6, v[0:1] offset:6664
	s_waitcnt lgkmcnt(0)
	s_barrier
	buffer_gl0_inv
	s_and_saveexec_b32 s0, vcc_lo
	s_cbranch_execz .LBB0_26
; %bb.24:
	v_mul_lo_u32 v2, s3, v40
	v_mul_lo_u32 v3, s2, v41
	v_mad_u64_u32 v[0:1], null, s2, v40, 0
	v_mov_b32_e32 v39, 0
	v_lshl_add_u32 v24, v38, 3, 0
	v_lshlrev_b64 v[6:7], 3, v[36:37]
	v_add_nc_u32_e32 v8, 0x77, v38
	v_add_nc_u32_e32 v10, 0xee, v38
	v_mov_b32_e32 v9, v39
	v_add3_u32 v1, v1, v3, v2
	v_add_nc_u32_e32 v16, 0x400, v24
	v_lshlrev_b64 v[12:13], 3, v[38:39]
	ds_read2_b64 v[2:5], v24 offset1:119
	v_mov_b32_e32 v11, v39
	v_lshlrev_b64 v[0:1], 3, v[0:1]
	v_lshlrev_b64 v[14:15], 3, v[8:9]
	v_add_nc_u32_e32 v18, 0x165, v38
	v_mov_b32_e32 v19, v39
	v_lshlrev_b64 v[10:11], 3, v[10:11]
	v_add_nc_u32_e32 v22, 0x1dc, v38
	v_add_co_u32 v0, vcc_lo, s10, v0
	v_add_co_ci_u32_e32 v1, vcc_lo, s11, v1, vcc_lo
	v_mov_b32_e32 v23, v39
	v_add_co_u32 v0, vcc_lo, v0, v6
	v_add_co_ci_u32_e32 v1, vcc_lo, v1, v7, vcc_lo
	ds_read2_b64 v[6:9], v16 offset0:110 offset1:229
	v_add_co_u32 v16, vcc_lo, v0, v12
	v_add_co_ci_u32_e32 v17, vcc_lo, v1, v13, vcc_lo
	v_add_co_u32 v14, vcc_lo, v0, v14
	v_add_nc_u32_e32 v12, 0xc00, v24
	v_add_co_ci_u32_e32 v15, vcc_lo, v1, v15, vcc_lo
	v_add_co_u32 v20, vcc_lo, v0, v10
	v_add_co_ci_u32_e32 v21, vcc_lo, v1, v11, vcc_lo
	ds_read2_b64 v[10:13], v12 offset0:92 offset1:211
	v_lshlrev_b64 v[18:19], 3, v[18:19]
	s_waitcnt lgkmcnt(2)
	global_store_dwordx2 v[16:17], v[2:3], off
	global_store_dwordx2 v[14:15], v[4:5], off
	s_waitcnt lgkmcnt(1)
	global_store_dwordx2 v[20:21], v[6:7], off
	v_lshlrev_b64 v[2:3], 3, v[22:23]
	v_add_nc_u32_e32 v16, 0x1400, v24
	v_add_co_u32 v4, vcc_lo, v0, v18
	v_add_co_ci_u32_e32 v5, vcc_lo, v1, v19, vcc_lo
	v_add_co_u32 v2, vcc_lo, v0, v2
	v_add_co_ci_u32_e32 v3, vcc_lo, v1, v3, vcc_lo
	v_add_nc_u32_e32 v6, 0x253, v38
	v_mov_b32_e32 v7, v39
	global_store_dwordx2 v[4:5], v[8:9], off
	s_waitcnt lgkmcnt(0)
	global_store_dwordx2 v[2:3], v[10:11], off
	v_add_nc_u32_e32 v14, 0x2ca, v38
	v_mov_b32_e32 v15, v39
	ds_read2_b64 v[2:5], v16 offset0:74 offset1:193
	v_lshlrev_b64 v[6:7], 3, v[6:7]
	v_add_nc_u32_e32 v10, 0x341, v38
	v_mov_b32_e32 v11, v39
	v_lshlrev_b64 v[8:9], 3, v[14:15]
	v_add_nc_u32_e32 v14, 0x3b8, v38
	v_add_nc_u32_e32 v16, 0x1c00, v24
	v_add_co_u32 v6, vcc_lo, v0, v6
	v_lshlrev_b64 v[10:11], 3, v[10:11]
	v_add_co_ci_u32_e32 v7, vcc_lo, v1, v7, vcc_lo
	v_add_co_u32 v8, vcc_lo, v0, v8
	v_add_co_ci_u32_e32 v9, vcc_lo, v1, v9, vcc_lo
	v_add_co_u32 v10, vcc_lo, v0, v10
	v_add_co_ci_u32_e32 v11, vcc_lo, v1, v11, vcc_lo
	global_store_dwordx2 v[6:7], v[12:13], off
	s_waitcnt lgkmcnt(0)
	global_store_dwordx2 v[8:9], v[2:3], off
	global_store_dwordx2 v[10:11], v[4:5], off
	v_lshlrev_b64 v[6:7], 3, v[14:15]
	v_add_nc_u32_e32 v8, 0x42f, v38
	v_mov_b32_e32 v9, v39
	ds_read2_b64 v[2:5], v16 offset0:56 offset1:175
	v_add_nc_u32_e32 v16, 0x2400, v24
	v_add_nc_u32_e32 v10, 0x4a6, v38
	v_mov_b32_e32 v11, v39
	v_add_co_u32 v12, vcc_lo, v0, v6
	v_lshlrev_b64 v[14:15], 3, v[8:9]
	v_add_co_ci_u32_e32 v13, vcc_lo, v1, v7, vcc_lo
	ds_read2_b64 v[6:9], v16 offset0:38 offset1:157
	v_add_nc_u32_e32 v16, 0x51d, v38
	v_mov_b32_e32 v17, v39
	v_lshlrev_b64 v[10:11], 3, v[10:11]
	v_add_co_u32 v14, vcc_lo, v0, v14
	v_add_co_ci_u32_e32 v15, vcc_lo, v1, v15, vcc_lo
	v_lshlrev_b64 v[16:17], 3, v[16:17]
	v_add_co_u32 v10, vcc_lo, v0, v10
	v_add_co_ci_u32_e32 v11, vcc_lo, v1, v11, vcc_lo
	v_add_co_u32 v16, vcc_lo, v0, v16
	v_add_co_ci_u32_e32 v17, vcc_lo, v1, v17, vcc_lo
	v_cmp_eq_u32_e32 vcc_lo, 0x76, v38
	s_waitcnt lgkmcnt(1)
	global_store_dwordx2 v[12:13], v[2:3], off
	global_store_dwordx2 v[14:15], v[4:5], off
	s_waitcnt lgkmcnt(0)
	global_store_dwordx2 v[10:11], v[6:7], off
	global_store_dwordx2 v[16:17], v[8:9], off
	s_and_b32 exec_lo, exec_lo, vcc_lo
	s_cbranch_execz .LBB0_26
; %bb.25:
	ds_read_b64 v[2:3], v39 offset:11424
	v_add_co_u32 v0, vcc_lo, 0x2800, v0
	v_add_co_ci_u32_e32 v1, vcc_lo, 0, v1, vcc_lo
	s_waitcnt lgkmcnt(0)
	global_store_dwordx2 v[0:1], v[2:3], off offset:1184
.LBB0_26:
	s_endpgm
	.section	.rodata,"a",@progbits
	.p2align	6, 0x0
	.amdhsa_kernel fft_rtc_back_len1428_factors_17_2_7_6_wgs_119_tpt_119_halfLds_sp_op_CI_CI_unitstride_sbrr_R2C_dirReg
		.amdhsa_group_segment_fixed_size 0
		.amdhsa_private_segment_fixed_size 0
		.amdhsa_kernarg_size 104
		.amdhsa_user_sgpr_count 6
		.amdhsa_user_sgpr_private_segment_buffer 1
		.amdhsa_user_sgpr_dispatch_ptr 0
		.amdhsa_user_sgpr_queue_ptr 0
		.amdhsa_user_sgpr_kernarg_segment_ptr 1
		.amdhsa_user_sgpr_dispatch_id 0
		.amdhsa_user_sgpr_flat_scratch_init 0
		.amdhsa_user_sgpr_private_segment_size 0
		.amdhsa_wavefront_size32 1
		.amdhsa_uses_dynamic_stack 0
		.amdhsa_system_sgpr_private_segment_wavefront_offset 0
		.amdhsa_system_sgpr_workgroup_id_x 1
		.amdhsa_system_sgpr_workgroup_id_y 0
		.amdhsa_system_sgpr_workgroup_id_z 0
		.amdhsa_system_sgpr_workgroup_info 0
		.amdhsa_system_vgpr_workitem_id 0
		.amdhsa_next_free_vgpr 152
		.amdhsa_next_free_sgpr 27
		.amdhsa_reserve_vcc 1
		.amdhsa_reserve_flat_scratch 0
		.amdhsa_float_round_mode_32 0
		.amdhsa_float_round_mode_16_64 0
		.amdhsa_float_denorm_mode_32 3
		.amdhsa_float_denorm_mode_16_64 3
		.amdhsa_dx10_clamp 1
		.amdhsa_ieee_mode 1
		.amdhsa_fp16_overflow 0
		.amdhsa_workgroup_processor_mode 1
		.amdhsa_memory_ordered 1
		.amdhsa_forward_progress 0
		.amdhsa_shared_vgpr_count 0
		.amdhsa_exception_fp_ieee_invalid_op 0
		.amdhsa_exception_fp_denorm_src 0
		.amdhsa_exception_fp_ieee_div_zero 0
		.amdhsa_exception_fp_ieee_overflow 0
		.amdhsa_exception_fp_ieee_underflow 0
		.amdhsa_exception_fp_ieee_inexact 0
		.amdhsa_exception_int_div_zero 0
	.end_amdhsa_kernel
	.text
.Lfunc_end0:
	.size	fft_rtc_back_len1428_factors_17_2_7_6_wgs_119_tpt_119_halfLds_sp_op_CI_CI_unitstride_sbrr_R2C_dirReg, .Lfunc_end0-fft_rtc_back_len1428_factors_17_2_7_6_wgs_119_tpt_119_halfLds_sp_op_CI_CI_unitstride_sbrr_R2C_dirReg
                                        ; -- End function
	.section	.AMDGPU.csdata,"",@progbits
; Kernel info:
; codeLenInByte = 12028
; NumSgprs: 29
; NumVgprs: 152
; ScratchSize: 0
; MemoryBound: 0
; FloatMode: 240
; IeeeMode: 1
; LDSByteSize: 0 bytes/workgroup (compile time only)
; SGPRBlocks: 3
; VGPRBlocks: 18
; NumSGPRsForWavesPerEU: 29
; NumVGPRsForWavesPerEU: 152
; Occupancy: 6
; WaveLimiterHint : 1
; COMPUTE_PGM_RSRC2:SCRATCH_EN: 0
; COMPUTE_PGM_RSRC2:USER_SGPR: 6
; COMPUTE_PGM_RSRC2:TRAP_HANDLER: 0
; COMPUTE_PGM_RSRC2:TGID_X_EN: 1
; COMPUTE_PGM_RSRC2:TGID_Y_EN: 0
; COMPUTE_PGM_RSRC2:TGID_Z_EN: 0
; COMPUTE_PGM_RSRC2:TIDIG_COMP_CNT: 0
	.text
	.p2alignl 6, 3214868480
	.fill 48, 4, 3214868480
	.type	__hip_cuid_4c5c0745370321d5,@object ; @__hip_cuid_4c5c0745370321d5
	.section	.bss,"aw",@nobits
	.globl	__hip_cuid_4c5c0745370321d5
__hip_cuid_4c5c0745370321d5:
	.byte	0                               ; 0x0
	.size	__hip_cuid_4c5c0745370321d5, 1

	.ident	"AMD clang version 19.0.0git (https://github.com/RadeonOpenCompute/llvm-project roc-6.4.0 25133 c7fe45cf4b819c5991fe208aaa96edf142730f1d)"
	.section	".note.GNU-stack","",@progbits
	.addrsig
	.addrsig_sym __hip_cuid_4c5c0745370321d5
	.amdgpu_metadata
---
amdhsa.kernels:
  - .args:
      - .actual_access:  read_only
        .address_space:  global
        .offset:         0
        .size:           8
        .value_kind:     global_buffer
      - .offset:         8
        .size:           8
        .value_kind:     by_value
      - .actual_access:  read_only
        .address_space:  global
        .offset:         16
        .size:           8
        .value_kind:     global_buffer
      - .actual_access:  read_only
        .address_space:  global
        .offset:         24
        .size:           8
        .value_kind:     global_buffer
      - .actual_access:  read_only
        .address_space:  global
        .offset:         32
        .size:           8
        .value_kind:     global_buffer
      - .offset:         40
        .size:           8
        .value_kind:     by_value
      - .actual_access:  read_only
        .address_space:  global
        .offset:         48
        .size:           8
        .value_kind:     global_buffer
      - .actual_access:  read_only
        .address_space:  global
        .offset:         56
        .size:           8
        .value_kind:     global_buffer
      - .offset:         64
        .size:           4
        .value_kind:     by_value
      - .actual_access:  read_only
        .address_space:  global
        .offset:         72
        .size:           8
        .value_kind:     global_buffer
      - .actual_access:  read_only
        .address_space:  global
        .offset:         80
        .size:           8
        .value_kind:     global_buffer
      - .actual_access:  read_only
        .address_space:  global
        .offset:         88
        .size:           8
        .value_kind:     global_buffer
      - .actual_access:  write_only
        .address_space:  global
        .offset:         96
        .size:           8
        .value_kind:     global_buffer
    .group_segment_fixed_size: 0
    .kernarg_segment_align: 8
    .kernarg_segment_size: 104
    .language:       OpenCL C
    .language_version:
      - 2
      - 0
    .max_flat_workgroup_size: 119
    .name:           fft_rtc_back_len1428_factors_17_2_7_6_wgs_119_tpt_119_halfLds_sp_op_CI_CI_unitstride_sbrr_R2C_dirReg
    .private_segment_fixed_size: 0
    .sgpr_count:     29
    .sgpr_spill_count: 0
    .symbol:         fft_rtc_back_len1428_factors_17_2_7_6_wgs_119_tpt_119_halfLds_sp_op_CI_CI_unitstride_sbrr_R2C_dirReg.kd
    .uniform_work_group_size: 1
    .uses_dynamic_stack: false
    .vgpr_count:     152
    .vgpr_spill_count: 0
    .wavefront_size: 32
    .workgroup_processor_mode: 1
amdhsa.target:   amdgcn-amd-amdhsa--gfx1030
amdhsa.version:
  - 1
  - 2
...

	.end_amdgpu_metadata
